;; amdgpu-corpus repo=ROCm/rocFFT kind=compiled arch=gfx906 opt=O3
	.text
	.amdgcn_target "amdgcn-amd-amdhsa--gfx906"
	.amdhsa_code_object_version 6
	.protected	bluestein_single_fwd_len637_dim1_dp_op_CI_CI ; -- Begin function bluestein_single_fwd_len637_dim1_dp_op_CI_CI
	.globl	bluestein_single_fwd_len637_dim1_dp_op_CI_CI
	.p2align	8
	.type	bluestein_single_fwd_len637_dim1_dp_op_CI_CI,@function
bluestein_single_fwd_len637_dim1_dp_op_CI_CI: ; @bluestein_single_fwd_len637_dim1_dp_op_CI_CI
; %bb.0:
	s_mov_b64 s[50:51], s[2:3]
	s_mov_b64 s[48:49], s[0:1]
	s_load_dwordx4 s[0:3], s[4:5], 0x28
	v_mul_u32_u24_e32 v1, 0x2d1, v0
	v_add_u32_sdwa v112, s6, v1 dst_sel:DWORD dst_unused:UNUSED_PAD src0_sel:DWORD src1_sel:WORD_1
	v_mov_b32_e32 v113, 0
	s_add_u32 s48, s48, s7
	s_waitcnt lgkmcnt(0)
	v_cmp_gt_u64_e32 vcc, s[0:1], v[112:113]
	s_addc_u32 s49, s49, 0
	s_and_saveexec_b64 s[0:1], vcc
	s_cbranch_execz .LBB0_15
; %bb.1:
	s_load_dwordx2 s[14:15], s[4:5], 0x0
	s_load_dwordx2 s[12:13], s[4:5], 0x38
	s_movk_i32 s0, 0x5b
	v_mul_lo_u16_sdwa v1, v1, s0 dst_sel:DWORD dst_unused:UNUSED_PAD src0_sel:WORD_1 src1_sel:DWORD
	v_sub_u16_e32 v246, v0, v1
	v_cmp_gt_u16_e64 s[0:1], 49, v246
	v_lshlrev_b32_e32 v245, 4, v246
	s_and_saveexec_b64 s[6:7], s[0:1]
	s_cbranch_execz .LBB0_3
; %bb.2:
	s_load_dwordx2 s[8:9], s[4:5], 0x18
	s_waitcnt lgkmcnt(0)
	v_mov_b32_e32 v44, s15
	s_load_dwordx4 s[8:11], s[8:9], 0x0
	s_waitcnt lgkmcnt(0)
	v_mad_u64_u32 v[0:1], s[16:17], s10, v112, 0
	v_mad_u64_u32 v[2:3], s[16:17], s8, v246, 0
	;; [unrolled: 1-line block ×4, first 2 shown]
	v_mov_b32_e32 v1, v4
	v_lshlrev_b64 v[0:1], 4, v[0:1]
	v_mov_b32_e32 v3, v5
	v_mov_b32_e32 v6, s3
	v_lshlrev_b64 v[2:3], 4, v[2:3]
	v_add_co_u32_e32 v0, vcc, s2, v0
	v_addc_co_u32_e32 v1, vcc, v6, v1, vcc
	v_add_co_u32_e32 v16, vcc, v0, v2
	s_mul_i32 s2, s9, 0x310
	s_mul_hi_u32 s3, s8, 0x310
	v_addc_co_u32_e32 v17, vcc, v1, v3, vcc
	s_add_i32 s2, s3, s2
	s_mul_i32 s3, s8, 0x310
	v_mov_b32_e32 v0, s2
	v_add_co_u32_e32 v18, vcc, s3, v16
	v_addc_co_u32_e32 v19, vcc, v17, v0, vcc
	global_load_dwordx4 v[0:3], v[16:17], off
	global_load_dwordx4 v[4:7], v[18:19], off
	global_load_dwordx4 v[8:11], v245, s[14:15]
	global_load_dwordx4 v[12:15], v245, s[14:15] offset:784
	v_mov_b32_e32 v16, s2
	v_add_co_u32_e32 v32, vcc, s3, v18
	v_addc_co_u32_e32 v33, vcc, v19, v16, vcc
	v_add_co_u32_e32 v34, vcc, s3, v32
	v_addc_co_u32_e32 v35, vcc, v33, v16, vcc
	global_load_dwordx4 v[16:19], v[32:33], off
	global_load_dwordx4 v[20:23], v[34:35], off
	global_load_dwordx4 v[24:27], v245, s[14:15] offset:1568
	global_load_dwordx4 v[28:31], v245, s[14:15] offset:2352
	v_mov_b32_e32 v32, s2
	v_add_co_u32_e32 v52, vcc, s3, v34
	v_addc_co_u32_e32 v53, vcc, v35, v32, vcc
	v_add_co_u32_e32 v94, vcc, s14, v245
	s_movk_i32 s8, 0x1000
	v_addc_co_u32_e32 v95, vcc, 0, v44, vcc
	global_load_dwordx4 v[32:35], v[52:53], off
	v_add_co_u32_e32 v88, vcc, s8, v94
	global_load_dwordx4 v[36:39], v245, s[14:15] offset:3136
	global_load_dwordx4 v[40:43], v245, s[14:15] offset:3920
	v_addc_co_u32_e32 v89, vcc, 0, v95, vcc
	v_mov_b32_e32 v54, s2
	v_add_co_u32_e32 v56, vcc, s3, v52
	v_addc_co_u32_e32 v57, vcc, v53, v54, vcc
	v_mov_b32_e32 v58, s2
	v_add_co_u32_e32 v60, vcc, s3, v56
	;; [unrolled: 3-line block ×4, first 2 shown]
	global_load_dwordx4 v[44:47], v[88:89], off offset:608
	global_load_dwordx4 v[48:51], v[88:89], off offset:1392
	global_load_dwordx4 v[52:55], v[56:57], off
	v_addc_co_u32_e32 v69, vcc, v65, v66, vcc
	v_mov_b32_e32 v70, s2
	v_add_co_u32_e32 v80, vcc, s3, v68
	v_addc_co_u32_e32 v81, vcc, v69, v70, vcc
	v_mov_b32_e32 v82, s2
	v_add_co_u32_e32 v90, vcc, s3, v80
	global_load_dwordx4 v[56:59], v[60:61], off
	v_addc_co_u32_e32 v91, vcc, v81, v82, vcc
	global_load_dwordx4 v[60:63], v[64:65], off
	v_add_co_u32_e32 v92, vcc, s3, v90
	global_load_dwordx4 v[64:67], v[68:69], off
	s_nop 0
	global_load_dwordx4 v[68:71], v[80:81], off
	global_load_dwordx4 v[72:75], v[88:89], off offset:2176
	global_load_dwordx4 v[76:79], v[88:89], off offset:2960
	s_nop 0
	global_load_dwordx4 v[80:83], v[90:91], off
	global_load_dwordx4 v[84:87], v[88:89], off offset:3744
	v_mov_b32_e32 v88, s2
	v_addc_co_u32_e32 v93, vcc, v91, v88, vcc
	s_movk_i32 s8, 0x2000
	v_add_co_u32_e32 v104, vcc, s8, v94
	v_addc_co_u32_e32 v105, vcc, 0, v95, vcc
	global_load_dwordx4 v[88:91], v[92:93], off
	v_mov_b32_e32 v94, s2
	v_add_co_u32_e32 v106, vcc, s3, v92
	v_addc_co_u32_e32 v107, vcc, v93, v94, vcc
	global_load_dwordx4 v[92:95], v[104:105], off offset:432
	global_load_dwordx4 v[96:99], v[106:107], off
	global_load_dwordx4 v[100:103], v[104:105], off offset:1216
	s_waitcnt vmcnt(23)
	v_mul_f64 v[104:105], v[2:3], v[10:11]
	v_mul_f64 v[10:11], v[0:1], v[10:11]
	s_waitcnt vmcnt(22)
	v_mul_f64 v[106:107], v[6:7], v[14:15]
	v_fma_f64 v[0:1], v[0:1], v[8:9], v[104:105]
	v_fma_f64 v[2:3], v[2:3], v[8:9], -v[10:11]
	v_mul_f64 v[8:9], v[4:5], v[14:15]
	s_waitcnt vmcnt(19)
	v_mul_f64 v[10:11], v[18:19], v[26:27]
	v_mul_f64 v[14:15], v[16:17], v[26:27]
	s_waitcnt vmcnt(18)
	v_mul_f64 v[26:27], v[22:23], v[30:31]
	v_mul_f64 v[30:31], v[20:21], v[30:31]
	v_fma_f64 v[4:5], v[4:5], v[12:13], v[106:107]
	v_fma_f64 v[6:7], v[6:7], v[12:13], -v[8:9]
	v_fma_f64 v[8:9], v[16:17], v[24:25], v[10:11]
	v_fma_f64 v[10:11], v[18:19], v[24:25], -v[14:15]
	v_fma_f64 v[12:13], v[20:21], v[28:29], v[26:27]
	s_waitcnt vmcnt(16)
	v_mul_f64 v[104:105], v[34:35], v[38:39]
	v_mul_f64 v[38:39], v[32:33], v[38:39]
	v_fma_f64 v[14:15], v[22:23], v[28:29], -v[30:31]
	ds_write_b128 v245, v[0:3]
	ds_write_b128 v245, v[4:7] offset:784
	ds_write_b128 v245, v[8:11] offset:1568
	v_fma_f64 v[16:17], v[32:33], v[36:37], v[104:105]
	v_fma_f64 v[18:19], v[34:35], v[36:37], -v[38:39]
	ds_write_b128 v245, v[12:15] offset:2352
	ds_write_b128 v245, v[16:19] offset:3136
	s_waitcnt vmcnt(12)
	v_mul_f64 v[20:21], v[54:55], v[42:43]
	v_mul_f64 v[2:3], v[52:53], v[42:43]
	v_fma_f64 v[0:1], v[52:53], v[40:41], v[20:21]
	v_fma_f64 v[2:3], v[54:55], v[40:41], -v[2:3]
	s_waitcnt vmcnt(11)
	v_mul_f64 v[4:5], v[58:59], v[46:47]
	v_mul_f64 v[6:7], v[56:57], v[46:47]
	s_waitcnt vmcnt(10)
	v_mul_f64 v[8:9], v[62:63], v[50:51]
	v_mul_f64 v[10:11], v[60:61], v[50:51]
	;; [unrolled: 3-line block ×5, first 2 shown]
	v_fma_f64 v[4:5], v[56:57], v[44:45], v[4:5]
	v_fma_f64 v[6:7], v[58:59], v[44:45], -v[6:7]
	v_fma_f64 v[8:9], v[60:61], v[48:49], v[8:9]
	v_fma_f64 v[10:11], v[62:63], v[48:49], -v[10:11]
	;; [unrolled: 2-line block ×4, first 2 shown]
	v_fma_f64 v[20:21], v[80:81], v[84:85], v[20:21]
	s_waitcnt vmcnt(2)
	v_mul_f64 v[24:25], v[90:91], v[94:95]
	v_mul_f64 v[26:27], v[88:89], v[94:95]
	s_waitcnt vmcnt(0)
	v_mul_f64 v[28:29], v[98:99], v[102:103]
	v_mul_f64 v[30:31], v[96:97], v[102:103]
	v_fma_f64 v[22:23], v[82:83], v[84:85], -v[22:23]
	v_fma_f64 v[24:25], v[88:89], v[92:93], v[24:25]
	v_fma_f64 v[26:27], v[90:91], v[92:93], -v[26:27]
	v_fma_f64 v[28:29], v[96:97], v[100:101], v[28:29]
	v_fma_f64 v[30:31], v[98:99], v[100:101], -v[30:31]
	ds_write_b128 v245, v[0:3] offset:3920
	ds_write_b128 v245, v[4:7] offset:4704
	;; [unrolled: 1-line block ×8, first 2 shown]
.LBB0_3:
	s_or_b64 exec, exec, s[6:7]
	s_load_dwordx2 s[6:7], s[4:5], 0x20
	s_load_dwordx2 s[2:3], s[4:5], 0x8
	s_waitcnt lgkmcnt(0)
	s_barrier
	s_waitcnt lgkmcnt(0)
                                        ; implicit-def: $vgpr24_vgpr25
                                        ; implicit-def: $vgpr28_vgpr29
                                        ; implicit-def: $vgpr32_vgpr33
                                        ; implicit-def: $vgpr36_vgpr37
                                        ; implicit-def: $vgpr40_vgpr41
                                        ; implicit-def: $vgpr44_vgpr45
                                        ; implicit-def: $vgpr48_vgpr49
                                        ; implicit-def: $vgpr52_vgpr53
                                        ; implicit-def: $vgpr56_vgpr57
                                        ; implicit-def: $vgpr60_vgpr61
                                        ; implicit-def: $vgpr64_vgpr65
                                        ; implicit-def: $vgpr68_vgpr69
                                        ; implicit-def: $vgpr72_vgpr73
	s_and_saveexec_b64 s[4:5], s[0:1]
	s_cbranch_execz .LBB0_5
; %bb.4:
	ds_read_b128 v[24:27], v245
	ds_read_b128 v[28:31], v245 offset:784
	ds_read_b128 v[32:35], v245 offset:1568
	;; [unrolled: 1-line block ×12, first 2 shown]
.LBB0_5:
	s_or_b64 exec, exec, s[4:5]
	s_waitcnt lgkmcnt(4)
	v_add_f64 v[243:244], v[44:45], -v[56:57]
	s_mov_b32 s30, 0x66966769
	s_waitcnt lgkmcnt(0)
	v_add_f64 v[12:13], v[30:31], -v[74:75]
	s_mov_b32 s31, 0xbfefc445
	s_mov_b32 s37, 0x3fefc445
	;; [unrolled: 1-line block ×5, first 2 shown]
	v_mul_f64 v[80:81], v[243:244], s[36:37]
	v_add_f64 v[92:93], v[28:29], v[72:73]
	v_add_f64 v[16:17], v[34:35], -v[70:71]
	v_add_f64 v[14:15], v[28:29], -v[72:73]
	v_mul_f64 v[76:77], v[12:13], s[18:19]
	s_mov_b32 s4, 0xe00740e9
	s_mov_b32 s24, 0x42a4c3d2
	s_mov_b32 s5, 0x3fec55a7
	buffer_store_dword v80, off, s[48:51], 0 ; 4-byte Folded Spill
	s_nop 0
	buffer_store_dword v81, off, s[48:51], 0 offset:4 ; 4-byte Folded Spill
	s_mov_b32 s25, 0xbfea55e2
	v_add_f64 v[100:101], v[32:33], v[68:69]
	v_add_f64 v[117:118], v[30:31], v[74:75]
	v_add_f64 v[18:19], v[32:33], -v[68:69]
	v_mul_f64 v[78:79], v[16:17], s[24:25]
	v_mul_f64 v[127:128], v[14:15], s[18:19]
	v_fma_f64 v[0:1], v[92:93], s[4:5], v[76:77]
	v_add_f64 v[20:21], v[38:39], -v[66:67]
	s_mov_b32 s8, 0x1ea71119
	s_mov_b32 s9, 0x3fe22d96
	v_add_f64 v[104:105], v[34:35], v[70:71]
	v_mul_f64 v[84:85], v[18:19], s[24:25]
	v_fma_f64 v[2:3], v[100:101], s[8:9], v[78:79]
	v_fma_f64 v[4:5], v[117:118], s[4:5], -v[127:128]
	v_add_f64 v[0:1], v[24:25], v[0:1]
	v_add_f64 v[113:114], v[36:37], v[64:65]
	v_mul_f64 v[82:83], v[20:21], s[30:31]
	v_add_f64 v[22:23], v[36:37], -v[64:65]
	v_add_f64 v[223:224], v[42:43], -v[62:63]
	s_mov_b32 s10, 0xebaa3ed8
	s_mov_b32 s26, 0x2ef20147
	;; [unrolled: 1-line block ×4, first 2 shown]
	v_fma_f64 v[6:7], v[104:105], s[8:9], -v[84:85]
	v_add_f64 v[4:5], v[26:27], v[4:5]
	v_add_f64 v[0:1], v[2:3], v[0:1]
	v_fma_f64 v[2:3], v[113:114], s[10:11], v[82:83]
	v_add_f64 v[131:132], v[38:39], v[66:67]
	v_mul_f64 v[88:89], v[22:23], s[30:31]
	v_add_f64 v[121:122], v[40:41], v[60:61]
	v_mul_f64 v[86:87], v[223:224], s[26:27]
	v_add_f64 v[237:238], v[40:41], -v[60:61]
	v_add_f64 v[241:242], v[46:47], -v[58:59]
	s_mov_b32 s20, 0xb2365da1
	s_mov_b32 s28, 0x24c2f84
	;; [unrolled: 1-line block ×4, first 2 shown]
	v_add_f64 v[4:5], v[6:7], v[4:5]
	v_add_f64 v[0:1], v[2:3], v[0:1]
	v_fma_f64 v[2:3], v[131:132], s[10:11], -v[88:89]
	v_fma_f64 v[6:7], v[121:122], s[20:21], v[86:87]
	v_add_f64 v[141:142], v[42:43], v[62:63]
	v_mul_f64 v[94:95], v[237:238], s[26:27]
	v_add_f64 v[133:134], v[44:45], v[56:57]
	v_mul_f64 v[90:91], v[241:242], s[28:29]
	s_mov_b32 s16, 0xd0032e0c
	s_mov_b32 s17, 0xbfe7f3cc
	v_add_f64 v[2:3], v[2:3], v[4:5]
	v_add_f64 v[0:1], v[6:7], v[0:1]
	;; [unrolled: 1-line block ×3, first 2 shown]
	v_fma_f64 v[4:5], v[141:142], s[20:21], -v[94:95]
	v_mul_f64 v[96:97], v[243:244], s[28:29]
	v_fma_f64 v[6:7], v[133:134], s[16:17], v[90:91]
	v_mul_f64 v[106:107], v[12:13], s[24:25]
	v_mul_f64 v[143:144], v[14:15], s[24:25]
	v_add_f64 v[249:250], v[48:49], -v[52:53]
	s_mov_b32 s34, 0x4bc48dbf
	s_mov_b32 s35, 0xbfcea1e5
	v_add_f64 v[2:3], v[4:5], v[2:3]
	v_fma_f64 v[4:5], v[147:148], s[16:17], -v[96:97]
	v_add_f64 v[0:1], v[6:7], v[0:1]
	v_add_f64 v[247:248], v[50:51], -v[54:55]
	v_fma_f64 v[6:7], v[92:93], s[8:9], v[106:107]
	v_mul_f64 v[108:109], v[16:17], s[26:27]
	v_fma_f64 v[8:9], v[117:118], s[8:9], -v[143:144]
	v_mul_f64 v[119:120], v[18:19], s[26:27]
	v_add_f64 v[167:168], v[50:51], v[54:55]
	v_mul_f64 v[102:103], v[249:250], s[34:35]
	s_mov_b32 s22, 0x93053d00
	s_mov_b32 s23, 0xbfef11f4
	v_add_f64 v[159:160], v[48:49], v[52:53]
	v_mul_f64 v[98:99], v[247:248], s[34:35]
	v_add_f64 v[6:7], v[24:25], v[6:7]
	v_fma_f64 v[10:11], v[100:101], s[20:21], v[108:109]
	v_add_f64 v[8:9], v[26:27], v[8:9]
	v_fma_f64 v[115:116], v[104:105], s[20:21], -v[119:120]
	v_mul_f64 v[110:111], v[20:21], s[34:35]
	v_mul_f64 v[125:126], v[22:23], s[34:35]
	v_add_f64 v[2:3], v[4:5], v[2:3]
	v_fma_f64 v[4:5], v[167:168], s[22:23], -v[102:103]
	v_mul_f64 v[137:138], v[12:13], s[30:31]
	v_mul_f64 v[169:170], v[14:15], s[30:31]
	s_mov_b32 s39, 0x3fe5384d
	s_mov_b32 s38, s28
	v_fma_f64 v[123:124], v[159:160], s[22:23], v[98:99]
	v_add_f64 v[6:7], v[10:11], v[6:7]
	v_add_f64 v[8:9], v[115:116], v[8:9]
	v_fma_f64 v[10:11], v[113:114], s[22:23], v[110:111]
	v_fma_f64 v[129:130], v[131:132], s[22:23], -v[125:126]
	v_mul_f64 v[115:116], v[223:224], s[38:39]
	v_mul_f64 v[135:136], v[237:238], s[38:39]
	v_add_f64 v[2:3], v[4:5], v[2:3]
	v_fma_f64 v[4:5], v[92:93], s[10:11], v[137:138]
	v_mul_f64 v[145:146], v[16:17], s[34:35]
	v_fma_f64 v[139:140], v[117:118], s[10:11], -v[169:170]
	v_mul_f64 v[171:172], v[18:19], s[34:35]
	s_mov_b32 s41, 0x3fedeba7
	s_mov_b32 s40, s26
	v_add_f64 v[0:1], v[123:124], v[0:1]
	v_add_f64 v[6:7], v[10:11], v[6:7]
	;; [unrolled: 1-line block ×3, first 2 shown]
	v_fma_f64 v[10:11], v[121:122], s[16:17], v[115:116]
	v_fma_f64 v[129:130], v[141:142], s[16:17], -v[135:136]
	v_mul_f64 v[123:124], v[241:242], s[36:37]
	v_add_f64 v[4:5], v[24:25], v[4:5]
	v_fma_f64 v[151:152], v[100:101], s[22:23], v[145:146]
	v_add_f64 v[155:156], v[26:27], v[139:140]
	v_fma_f64 v[157:158], v[104:105], s[22:23], -v[171:172]
	v_mul_f64 v[149:150], v[20:21], s[40:41]
	v_mul_f64 v[153:154], v[22:23], s[40:41]
	s_mov_b32 s19, 0x3fddbe06
	v_add_f64 v[6:7], v[10:11], v[6:7]
	v_add_f64 v[8:9], v[129:130], v[8:9]
	v_fma_f64 v[10:11], v[133:134], s[10:11], v[123:124]
	v_fma_f64 v[161:162], v[147:148], s[10:11], -v[80:81]
	v_mul_f64 v[129:130], v[247:248], s[18:19]
	v_mul_f64 v[80:81], v[249:250], s[18:19]
	v_add_f64 v[4:5], v[151:152], v[4:5]
	v_add_f64 v[157:158], v[157:158], v[155:156]
	v_fma_f64 v[163:164], v[113:114], s[20:21], v[149:150]
	v_fma_f64 v[165:166], v[131:132], s[20:21], -v[153:154]
	v_mul_f64 v[151:152], v[223:224], s[18:19]
	v_mul_f64 v[155:156], v[237:238], s[18:19]
	v_add_f64 v[6:7], v[10:11], v[6:7]
	v_fma_f64 v[10:11], v[159:160], s[4:5], v[129:130]
	v_add_f64 v[8:9], v[161:162], v[8:9]
	v_fma_f64 v[161:162], v[167:168], s[4:5], -v[80:81]
	v_add_f64 v[175:176], v[163:164], v[4:5]
	v_add_f64 v[165:166], v[165:166], v[157:158]
	v_fma_f64 v[177:178], v[121:122], s[4:5], v[151:152]
	v_fma_f64 v[179:180], v[141:142], s[4:5], -v[155:156]
	v_mul_f64 v[173:174], v[12:13], s[26:27]
	v_mul_f64 v[183:184], v[14:15], s[26:27]
	v_add_f64 v[4:5], v[10:11], v[6:7]
	v_add_f64 v[6:7], v[161:162], v[8:9]
	v_mul_f64 v[185:186], v[18:19], s[38:39]
	v_mul_f64 v[163:164], v[243:244], s[24:25]
	v_add_f64 v[8:9], v[177:178], v[175:176]
	v_add_f64 v[10:11], v[179:180], v[165:166]
	v_fma_f64 v[177:178], v[92:93], s[20:21], v[173:174]
	v_mul_f64 v[175:176], v[16:17], s[38:39]
	v_fma_f64 v[179:180], v[117:118], s[20:21], -v[183:184]
	v_mul_f64 v[187:188], v[22:23], s[18:19]
	v_fma_f64 v[195:196], v[104:105], s[16:17], -v[185:186]
	;; [unrolled: 2-line block ×3, first 2 shown]
	v_mul_f64 v[165:166], v[249:250], s[28:29]
	v_add_f64 v[191:192], v[24:25], v[177:178]
	v_fma_f64 v[193:194], v[100:101], s[16:17], v[175:176]
	v_add_f64 v[179:180], v[26:27], v[179:180]
	v_mul_f64 v[177:178], v[20:21], s[18:19]
	v_fma_f64 v[201:202], v[131:132], s[4:5], -v[187:188]
	v_mul_f64 v[197:198], v[12:13], s[28:29]
	v_mul_f64 v[209:210], v[14:15], s[28:29]
	v_fma_f64 v[181:182], v[133:134], s[8:9], v[157:158]
	v_mul_f64 v[161:162], v[247:248], s[28:29]
	v_add_f64 v[191:192], v[193:194], v[191:192]
	v_add_f64 v[193:194], v[195:196], v[179:180]
	v_fma_f64 v[195:196], v[113:114], s[4:5], v[177:178]
	v_add_f64 v[10:11], v[189:190], v[10:11]
	v_fma_f64 v[199:200], v[167:168], s[16:17], -v[165:166]
	v_mul_f64 v[179:180], v[223:224], s[30:31]
	v_mul_f64 v[189:190], v[237:238], s[30:31]
	v_fma_f64 v[205:206], v[92:93], s[16:17], v[197:198]
	v_fma_f64 v[207:208], v[117:118], s[16:17], -v[209:210]
	v_mul_f64 v[211:212], v[18:19], s[36:37]
	v_add_f64 v[191:192], v[195:196], v[191:192]
	v_add_f64 v[195:196], v[201:202], v[193:194]
	v_mul_f64 v[201:202], v[16:17], s[36:37]
	v_add_f64 v[8:9], v[181:182], v[8:9]
	v_fma_f64 v[181:182], v[159:160], s[16:17], v[161:162]
	v_add_f64 v[10:11], v[199:200], v[10:11]
	v_fma_f64 v[199:200], v[121:122], s[10:11], v[179:180]
	v_fma_f64 v[203:204], v[141:142], s[10:11], -v[189:190]
	v_add_f64 v[213:214], v[24:25], v[205:206]
	v_add_f64 v[207:208], v[26:27], v[207:208]
	v_fma_f64 v[217:218], v[100:101], s[10:11], v[201:202]
	v_fma_f64 v[219:220], v[104:105], s[10:11], -v[211:212]
	v_mul_f64 v[205:206], v[20:21], s[24:25]
	v_mul_f64 v[215:216], v[22:23], s[24:25]
	s_mov_b32 s31, 0x3fcea1e5
	s_mov_b32 s30, s34
	v_add_f64 v[8:9], v[181:182], v[8:9]
	v_mul_f64 v[181:182], v[241:242], s[30:31]
	v_mul_f64 v[193:194], v[243:244], s[30:31]
	v_add_f64 v[221:222], v[199:200], v[191:192]
	v_add_f64 v[225:226], v[203:204], v[195:196]
	;; [unrolled: 1-line block ×4, first 2 shown]
	v_fma_f64 v[213:214], v[113:114], s[8:9], v[205:206]
	v_fma_f64 v[219:220], v[131:132], s[8:9], -v[215:216]
	v_mul_f64 v[199:200], v[223:224], s[30:31]
	v_mul_f64 v[217:218], v[237:238], s[30:31]
	s_mov_b32 s25, 0x3fea55e2
	v_fma_f64 v[227:228], v[133:134], s[22:23], v[181:182]
	v_fma_f64 v[229:230], v[147:148], s[22:23], -v[193:194]
	v_mul_f64 v[191:192], v[247:248], s[24:25]
	v_mul_f64 v[195:196], v[249:250], s[24:25]
	v_add_f64 v[231:232], v[213:214], v[203:204]
	v_add_f64 v[207:208], v[219:220], v[207:208]
	v_fma_f64 v[219:220], v[121:122], s[22:23], v[199:200]
	v_fma_f64 v[233:234], v[141:142], s[22:23], -v[217:218]
	v_mul_f64 v[203:204], v[241:242], s[18:19]
	v_mul_f64 v[213:214], v[243:244], s[18:19]
	v_add_f64 v[227:228], v[227:228], v[221:222]
	v_add_f64 v[225:226], v[229:230], v[225:226]
	v_fma_f64 v[229:230], v[159:160], s[8:9], v[191:192]
	v_fma_f64 v[235:236], v[167:168], s[8:9], -v[195:196]
	v_add_f64 v[239:240], v[219:220], v[231:232]
	v_add_f64 v[233:234], v[233:234], v[207:208]
	v_fma_f64 v[251:252], v[133:134], s[4:5], v[203:204]
	v_fma_f64 v[253:254], v[147:148], s[4:5], -v[213:214]
	v_mul_f64 v[207:208], v[247:248], s[26:27]
	v_mul_f64 v[219:220], v[249:250], s[26:27]
	;; [unrolled: 1-line block ×4, first 2 shown]
	v_add_f64 v[12:13], v[229:230], v[227:228]
	v_add_f64 v[14:15], v[235:236], v[225:226]
	;; [unrolled: 1-line block ×4, first 2 shown]
	v_fma_f64 v[233:234], v[159:160], s[20:21], v[207:208]
	v_fma_f64 v[239:240], v[167:168], s[20:21], -v[219:220]
	v_fma_f64 v[251:252], v[92:93], s[22:23], v[221:222]
	v_mul_f64 v[227:228], v[16:17], s[18:19]
	v_fma_f64 v[253:254], v[117:118], s[22:23], -v[231:232]
	v_mul_f64 v[235:236], v[18:19], s[18:19]
	s_waitcnt vmcnt(0)
	s_barrier
	v_add_f64 v[16:17], v[233:234], v[225:226]
	v_add_f64 v[18:19], v[239:240], v[229:230]
	v_add_f64 v[225:226], v[24:25], v[251:252]
	v_fma_f64 v[239:240], v[100:101], s[4:5], v[227:228]
	v_add_f64 v[251:252], v[26:27], v[253:254]
	v_fma_f64 v[253:254], v[104:105], s[4:5], -v[235:236]
	v_mul_f64 v[229:230], v[20:21], s[28:29]
	v_mul_f64 v[233:234], v[22:23], s[28:29]
	v_add_f64 v[20:21], v[239:240], v[225:226]
	v_mul_f64 v[225:226], v[223:224], s[24:25]
	v_add_f64 v[22:23], v[253:254], v[251:252]
	v_fma_f64 v[251:252], v[113:114], s[16:17], v[229:230]
	v_fma_f64 v[253:254], v[131:132], s[16:17], -v[233:234]
	v_mul_f64 v[239:240], v[237:238], s[24:25]
	v_mul_f64 v[237:238], v[241:242], s[26:27]
	;; [unrolled: 1-line block ×4, first 2 shown]
	v_fma_f64 v[223:224], v[121:122], s[8:9], v[225:226]
	v_add_f64 v[20:21], v[251:252], v[20:21]
	v_add_f64 v[22:23], v[253:254], v[22:23]
	v_fma_f64 v[251:252], v[141:142], s[8:9], -v[239:240]
	v_fma_f64 v[253:254], v[147:148], s[20:21], -v[241:242]
	;; [unrolled: 1-line block ×3, first 2 shown]
	v_add_f64 v[20:21], v[223:224], v[20:21]
	v_mul_f64 v[223:224], v[247:248], s[36:37]
	v_add_f64 v[22:23], v[251:252], v[22:23]
	v_fma_f64 v[251:252], v[133:134], s[20:21], v[237:238]
	v_fma_f64 v[247:248], v[159:160], s[10:11], v[223:224]
	v_add_f64 v[22:23], v[253:254], v[22:23]
	v_add_f64 v[20:21], v[251:252], v[20:21]
	;; [unrolled: 1-line block ×4, first 2 shown]
	v_mul_lo_u16_e32 v247, 13, v246
	s_and_saveexec_b64 s[18:19], s[0:1]
	s_cbranch_execz .LBB0_7
; %bb.6:
	v_mul_f64 v[248:249], v[167:168], s[10:11]
	v_mul_f64 v[250:251], v[147:148], s[20:21]
	;; [unrolled: 1-line block ×3, first 2 shown]
	v_add_f64 v[28:29], v[24:25], v[28:29]
	v_mul_f64 v[254:255], v[133:134], s[16:17]
	v_add_f64 v[30:31], v[26:27], v[30:31]
	v_mov_b32_e32 v140, v99
	v_mov_b32_e32 v139, v98
	v_add_f64 v[243:244], v[243:244], v[248:249]
	v_mul_f64 v[248:249], v[117:118], s[22:23]
	v_add_f64 v[241:242], v[241:242], v[250:251]
	v_mul_f64 v[250:251], v[104:105], s[4:5]
	;; [unrolled: 2-line block ×3, first 2 shown]
	v_add_f64 v[28:29], v[28:29], v[32:33]
	v_add_f64 v[30:31], v[30:31], v[34:35]
	v_mov_b32_e32 v99, v91
	v_add_f64 v[231:232], v[231:232], v[248:249]
	v_mul_f64 v[248:249], v[131:132], s[16:17]
	v_add_f64 v[235:236], v[235:236], v[250:251]
	v_mul_f64 v[250:251], v[133:134], s[20:21]
	v_add_f64 v[221:222], v[252:253], -v[221:222]
	v_mul_f64 v[252:253], v[100:101], s[4:5]
	v_add_f64 v[28:29], v[28:29], v[36:37]
	v_add_f64 v[30:31], v[30:31], v[38:39]
	;; [unrolled: 1-line block ×4, first 2 shown]
	v_mul_f64 v[248:249], v[113:114], s[16:17]
	v_add_f64 v[237:238], v[250:251], -v[237:238]
	v_mul_f64 v[250:251], v[117:118], s[16:17]
	v_add_f64 v[227:228], v[252:253], -v[227:228]
	v_add_f64 v[221:222], v[24:25], v[221:222]
	v_mul_f64 v[252:253], v[92:93], s[4:5]
	v_add_f64 v[231:232], v[235:236], v[231:232]
	v_mul_f64 v[235:236], v[121:122], s[8:9]
	v_add_f64 v[229:230], v[248:249], -v[229:230]
	v_mul_f64 v[248:249], v[104:105], s[10:11]
	v_add_f64 v[209:210], v[209:210], v[250:251]
	v_mul_f64 v[250:251], v[117:118], s[4:5]
	v_add_f64 v[221:222], v[227:228], v[221:222]
	;; [unrolled: 2-line block ×3, first 2 shown]
	v_add_f64 v[225:226], v[235:236], -v[225:226]
	v_mul_f64 v[235:236], v[131:132], s[8:9]
	v_add_f64 v[211:212], v[211:212], v[248:249]
	v_add_f64 v[209:210], v[26:27], v[209:210]
	v_mul_f64 v[248:249], v[92:93], s[10:11]
	v_add_f64 v[221:222], v[229:230], v[221:222]
	v_mul_f64 v[233:234], v[117:118], s[8:9]
	;; [unrolled: 2-line block ×5, first 2 shown]
	v_mul_f64 v[92:93], v[92:93], s[16:17]
	v_add_f64 v[221:222], v[225:226], v[221:222]
	v_mul_f64 v[229:230], v[117:118], s[10:11]
	v_mul_f64 v[117:118], v[117:118], s[20:21]
	v_add_f64 v[231:232], v[241:242], v[231:232]
	v_add_f64 v[223:224], v[235:236], -v[223:224]
	v_mul_f64 v[235:236], v[147:148], s[4:5]
	v_add_f64 v[211:212], v[217:218], v[211:212]
	v_add_f64 v[209:210], v[215:216], v[209:210]
	v_mul_f64 v[215:216], v[100:101], s[10:11]
	v_add_f64 v[92:93], v[92:93], -v[197:198]
	v_mul_f64 v[241:242], v[100:101], s[8:9]
	v_mul_f64 v[225:226], v[104:105], s[8:9]
	;; [unrolled: 1-line block ×3, first 2 shown]
	v_add_f64 v[213:214], v[213:214], v[235:236]
	v_mul_f64 v[235:236], v[167:168], s[20:21]
	v_add_f64 v[209:210], v[211:212], v[209:210]
	v_add_f64 v[201:202], v[215:216], -v[201:202]
	v_mul_f64 v[215:216], v[113:114], s[8:9]
	v_add_f64 v[92:93], v[24:25], v[92:93]
	v_add_f64 v[221:222], v[237:238], v[221:222]
	v_mul_f64 v[237:238], v[104:105], s[20:21]
	v_mul_f64 v[197:198], v[100:101], s[22:23]
	v_add_f64 v[219:220], v[219:220], v[235:236]
	v_mul_f64 v[235:236], v[159:160], s[20:21]
	v_add_f64 v[209:210], v[213:214], v[209:210]
	v_mul_f64 v[213:214], v[121:122], s[22:23]
	v_add_f64 v[205:206], v[215:216], -v[205:206]
	v_add_f64 v[92:93], v[201:202], v[92:93]
	v_mul_f64 v[211:212], v[104:105], s[22:23]
	v_mul_f64 v[100:101], v[100:101], s[16:17]
	;; [unrolled: 1-line block ×3, first 2 shown]
	v_add_f64 v[207:208], v[235:236], -v[207:208]
	v_mul_f64 v[235:236], v[133:134], s[4:5]
	v_add_f64 v[199:200], v[213:214], -v[199:200]
	v_add_f64 v[173:174], v[239:240], -v[173:174]
	v_add_f64 v[92:93], v[205:206], v[92:93]
	v_mul_f64 v[215:216], v[113:114], s[10:11]
	v_add_f64 v[117:118], v[183:184], v[117:118]
	v_mul_f64 v[183:184], v[113:114], s[22:23]
	v_mul_f64 v[205:206], v[131:132], s[4:5]
	v_add_f64 v[203:204], v[235:236], -v[203:204]
	v_add_f64 v[104:105], v[185:186], v[104:105]
	v_mul_f64 v[185:186], v[113:114], s[20:21]
	v_add_f64 v[92:93], v[199:200], v[92:93]
	v_mul_f64 v[113:114], v[113:114], s[4:5]
	v_mul_f64 v[199:200], v[121:122], s[16:17]
	;; [unrolled: 1-line block ×3, first 2 shown]
	v_add_f64 v[187:188], v[187:188], v[205:206]
	v_mul_f64 v[205:206], v[121:122], s[20:21]
	v_mul_f64 v[121:122], v[121:122], s[10:11]
	v_add_f64 v[169:170], v[169:170], v[229:230]
	v_add_f64 v[203:204], v[203:204], v[92:93]
	v_add_f64 v[92:93], v[100:101], -v[175:176]
	v_add_f64 v[100:101], v[24:25], v[173:174]
	v_add_f64 v[113:114], v[113:114], -v[177:178]
	v_mul_f64 v[201:202], v[131:132], s[10:11]
	v_mul_f64 v[213:214], v[131:132], s[22:23]
	v_add_f64 v[121:122], v[121:122], -v[179:180]
	v_add_f64 v[117:118], v[26:27], v[117:118]
	v_mul_f64 v[131:132], v[131:132], s[20:21]
	v_mul_f64 v[235:236], v[141:142], s[10:11]
	v_add_f64 v[92:93], v[92:93], v[100:101]
	v_add_f64 v[169:170], v[26:27], v[169:170]
	v_mul_f64 v[173:174], v[147:148], s[16:17]
	v_mul_f64 v[177:178], v[147:148], s[10:11]
	v_add_f64 v[143:144], v[143:144], v[233:234]
	v_add_f64 v[104:105], v[104:105], v[117:118]
	v_mul_f64 v[117:118], v[141:142], s[20:21]
	v_add_f64 v[189:190], v[189:190], v[235:236]
	v_add_f64 v[113:114], v[113:114], v[92:93]
	v_mul_f64 v[235:236], v[141:142], s[16:17]
	v_mul_f64 v[141:142], v[141:142], s[4:5]
	v_add_f64 v[131:132], v[153:154], v[131:132]
	v_add_f64 v[119:120], v[119:120], v[237:238]
	;; [unrolled: 1-line block ×3, first 2 shown]
	v_mul_f64 v[187:188], v[147:148], s[22:23]
	v_mul_f64 v[147:148], v[147:148], s[8:9]
	v_add_f64 v[113:114], v[121:122], v[113:114]
	v_add_f64 v[121:122], v[171:172], v[211:212]
	;; [unrolled: 1-line block ×3, first 2 shown]
	v_add_f64 v[34:35], v[197:198], -v[145:146]
	v_add_f64 v[125:126], v[125:126], v[213:214]
	v_add_f64 v[104:105], v[189:190], v[104:105]
	;; [unrolled: 1-line block ×4, first 2 shown]
	v_mul_f64 v[189:190], v[133:134], s[10:11]
	v_add_f64 v[121:122], v[121:122], v[169:170]
	v_mul_f64 v[193:194], v[133:134], s[8:9]
	v_mul_f64 v[133:134], v[133:134], s[22:23]
	v_add_f64 v[30:31], v[30:31], v[42:43]
	v_add_f64 v[28:29], v[28:29], v[40:41]
	v_add_f64 v[38:39], v[185:186], -v[149:150]
	v_mov_b32_e32 v98, v90
	v_mov_b32_e32 v91, v87
	v_add_f64 v[121:122], v[131:132], v[121:122]
	v_mov_b32_e32 v90, v86
	v_add_f64 v[133:134], v[133:134], -v[181:182]
	v_mov_b32_e32 v87, v83
	v_mov_b32_e32 v86, v82
	;; [unrolled: 1-line block ×5, first 2 shown]
	v_add_f64 v[32:33], v[32:33], v[121:122]
	v_add_f64 v[121:122], v[135:136], v[235:236]
	;; [unrolled: 1-line block ×3, first 2 shown]
	v_add_f64 v[133:134], v[248:249], -v[137:138]
	v_add_f64 v[137:138], v[26:27], v[143:144]
	v_add_f64 v[30:31], v[30:31], v[46:47]
	;; [unrolled: 1-line block ×3, first 2 shown]
	v_mov_b32_e32 v78, v76
	v_add_f64 v[32:33], v[36:37], v[32:33]
	buffer_load_dword v36, off, s[48:51], 0 ; 4-byte Folded Reload
	buffer_load_dword v37, off, s[48:51], 0 offset:4 ; 4-byte Folded Reload
	v_mul_f64 v[76:77], v[167:168], s[4:5]
	v_add_f64 v[133:134], v[24:25], v[133:134]
	v_add_f64 v[119:120], v[119:120], v[137:138]
	v_add_f64 v[42:43], v[239:240], -v[151:152]
	v_add_f64 v[30:31], v[30:31], v[50:51]
	v_add_f64 v[28:29], v[28:29], v[48:49]
	v_add_f64 v[48:49], v[227:228], -v[106:107]
	v_add_f64 v[50:51], v[217:218], -v[108:109]
	v_mul_f64 v[187:188], v[167:168], s[8:9]
	v_add_f64 v[34:35], v[34:35], v[133:134]
	v_add_f64 v[119:120], v[125:126], v[119:120]
	;; [unrolled: 1-line block ×6, first 2 shown]
	v_add_f64 v[54:55], v[215:216], -v[86:87]
	v_add_f64 v[187:188], v[195:196], v[187:188]
	v_add_f64 v[34:35], v[38:39], v[34:35]
	;; [unrolled: 1-line block ×3, first 2 shown]
	v_mul_f64 v[195:196], v[159:160], s[22:23]
	v_add_f64 v[30:31], v[30:31], v[58:59]
	v_add_f64 v[28:29], v[28:29], v[56:57]
	;; [unrolled: 1-line block ×3, first 2 shown]
	v_mul_f64 v[175:176], v[167:168], s[22:23]
	v_mul_f64 v[167:168], v[167:168], s[16:17]
	v_add_f64 v[34:35], v[42:43], v[34:35]
	v_add_f64 v[42:43], v[80:81], v[76:77]
	;; [unrolled: 1-line block ×6, first 2 shown]
	v_mul_f64 v[179:180], v[159:160], s[4:5]
	v_mul_f64 v[229:230], v[159:160], s[16:17]
	v_add_f64 v[46:47], v[193:194], -v[157:158]
	v_mul_f64 v[159:160], v[159:160], s[8:9]
	v_add_f64 v[26:27], v[26:27], v[80:81]
	v_add_f64 v[40:41], v[165:166], v[167:168]
	;; [unrolled: 1-line block ×4, first 2 shown]
	v_add_f64 v[58:59], v[195:196], -v[139:140]
	v_add_f64 v[44:45], v[229:230], -v[161:162]
	v_add_f64 v[46:47], v[46:47], v[34:35]
	v_add_f64 v[159:160], v[159:160], -v[191:192]
	v_add_f64 v[26:27], v[76:77], v[26:27]
	v_add_f64 v[104:105], v[187:188], v[104:105]
	;; [unrolled: 1-line block ×7, first 2 shown]
	v_add_f64 v[52:53], v[205:206], -v[90:91]
	v_add_f64 v[90:91], v[223:224], v[221:222]
	v_add_f64 v[26:27], v[56:57], v[26:27]
	v_add_f64 v[56:57], v[254:255], -v[98:99]
	v_add_f64 v[98:99], v[207:208], v[203:204]
	s_waitcnt vmcnt(0)
	v_add_f64 v[36:37], v[36:37], v[177:178]
	v_add_f64 v[36:37], v[36:37], v[38:39]
	v_add_f64 v[38:39], v[252:253], -v[78:79]
	v_add_f64 v[78:79], v[241:242], -v[82:83]
	v_add_f64 v[30:31], v[42:43], v[36:37]
	v_add_f64 v[38:39], v[24:25], v[38:39]
	v_add_f64 v[24:25], v[24:25], v[48:49]
	v_add_f64 v[48:49], v[183:184], -v[110:111]
	v_add_f64 v[36:37], v[28:29], v[72:73]
	v_add_f64 v[38:39], v[78:79], v[38:39]
	v_add_f64 v[24:25], v[50:51], v[24:25]
	;; [unrolled: 4-line block ×4, first 2 shown]
	v_add_f64 v[54:55], v[54:55], v[26:27]
	v_add_f64 v[50:51], v[179:180], -v[129:130]
	v_add_f64 v[26:27], v[40:41], v[32:33]
	v_add_f64 v[102:103], v[159:160], v[113:114]
	v_lshlrev_b32_e32 v40, 4, v247
	v_add_f64 v[56:57], v[56:57], v[38:39]
	v_add_f64 v[24:25], v[48:49], v[24:25]
	;; [unrolled: 1-line block ×7, first 2 shown]
	ds_write_b128 v40, v[36:39]
	ds_write_b128 v40, v[32:35] offset:16
	ds_write_b128 v40, v[28:31] offset:32
	;; [unrolled: 1-line block ×12, first 2 shown]
.LBB0_7:
	s_or_b64 exec, exec, s[18:19]
	s_movk_i32 s8, 0x4f
	v_mul_lo_u16_sdwa v24, v246, s8 dst_sel:DWORD dst_unused:UNUSED_PAD src0_sel:BYTE_0 src1_sel:DWORD
	v_lshrrev_b16_e32 v76, 10, v24
	v_mul_lo_u16_e32 v24, 13, v76
	v_sub_u16_e32 v24, v246, v24
	v_and_b32_e32 v77, 0xff, v24
	v_mul_u32_u24_e32 v24, 6, v77
	v_lshlrev_b32_e32 v48, 4, v24
	s_load_dwordx4 s[4:7], s[6:7], 0x0
	s_waitcnt lgkmcnt(0)
	s_barrier
	global_load_dwordx4 v[36:39], v48, s[2:3]
	global_load_dwordx4 v[32:35], v48, s[2:3] offset:16
	global_load_dwordx4 v[28:31], v48, s[2:3] offset:32
	;; [unrolled: 1-line block ×5, first 2 shown]
	ds_read_b128 v[48:51], v245
	ds_read_b128 v[52:55], v245 offset:1456
	ds_read_b128 v[56:59], v245 offset:2912
	;; [unrolled: 1-line block ×6, first 2 shown]
	v_mul_u32_u24_e32 v76, 0x5b, v76
	v_add_lshl_u32 v161, v76, v77, 4
	s_mov_b32 s10, 0x37e14327
	s_mov_b32 s8, 0x36b3c0b5
	;; [unrolled: 1-line block ×20, first 2 shown]
	s_waitcnt vmcnt(0) lgkmcnt(0)
	s_barrier
	s_movk_i32 s33, 0x60
	v_mul_f64 v[76:77], v[54:55], v[38:39]
	v_mul_f64 v[78:79], v[52:53], v[38:39]
	;; [unrolled: 1-line block ×12, first 2 shown]
	v_fma_f64 v[52:53], v[52:53], v[36:37], -v[76:77]
	v_fma_f64 v[54:55], v[54:55], v[36:37], v[78:79]
	v_fma_f64 v[56:57], v[56:57], v[32:33], -v[80:81]
	v_fma_f64 v[58:59], v[58:59], v[32:33], v[82:83]
	;; [unrolled: 2-line block ×6, first 2 shown]
	v_add_f64 v[76:77], v[52:53], v[72:73]
	v_add_f64 v[78:79], v[54:55], v[74:75]
	v_add_f64 v[52:53], v[52:53], -v[72:73]
	v_add_f64 v[54:55], v[54:55], -v[74:75]
	v_add_f64 v[72:73], v[56:57], v[68:69]
	v_add_f64 v[74:75], v[58:59], v[70:71]
	v_add_f64 v[56:57], v[56:57], -v[68:69]
	v_add_f64 v[58:59], v[58:59], -v[70:71]
	;; [unrolled: 4-line block ×4, first 2 shown]
	v_add_f64 v[76:77], v[76:77], -v[68:69]
	v_add_f64 v[78:79], v[78:79], -v[70:71]
	;; [unrolled: 1-line block ×4, first 2 shown]
	v_add_f64 v[84:85], v[60:61], v[56:57]
	v_add_f64 v[86:87], v[62:63], v[58:59]
	v_add_f64 v[88:89], v[60:61], -v[56:57]
	v_add_f64 v[90:91], v[62:63], -v[58:59]
	v_add_f64 v[64:65], v[68:69], v[64:65]
	v_add_f64 v[66:67], v[70:71], v[66:67]
	v_add_f64 v[56:57], v[56:57], -v[52:53]
	v_add_f64 v[58:59], v[58:59], -v[54:55]
	;; [unrolled: 1-line block ×4, first 2 shown]
	v_add_f64 v[52:53], v[84:85], v[52:53]
	v_add_f64 v[54:55], v[86:87], v[54:55]
	v_mul_f64 v[68:69], v[76:77], s[10:11]
	v_mul_f64 v[70:71], v[78:79], s[10:11]
	;; [unrolled: 1-line block ×6, first 2 shown]
	v_add_f64 v[48:49], v[48:49], v[64:65]
	v_add_f64 v[50:51], v[50:51], v[66:67]
	v_mul_f64 v[88:89], v[56:57], s[16:17]
	v_mul_f64 v[90:91], v[58:59], s[16:17]
	v_fma_f64 v[72:73], v[72:73], s[8:9], v[68:69]
	v_fma_f64 v[74:75], v[74:75], s[8:9], v[70:71]
	v_fma_f64 v[76:77], v[80:81], s[22:23], -v[76:77]
	v_fma_f64 v[78:79], v[82:83], s[22:23], -v[78:79]
	;; [unrolled: 1-line block ×4, first 2 shown]
	v_fma_f64 v[80:81], v[60:61], s[26:27], v[84:85]
	v_fma_f64 v[82:83], v[62:63], s[26:27], v[86:87]
	;; [unrolled: 1-line block ×4, first 2 shown]
	v_fma_f64 v[60:61], v[60:61], s[30:31], -v[88:89]
	v_fma_f64 v[62:63], v[62:63], s[30:31], -v[90:91]
	;; [unrolled: 1-line block ×4, first 2 shown]
	v_fma_f64 v[80:81], v[52:53], s[28:29], v[80:81]
	v_fma_f64 v[82:83], v[54:55], s[28:29], v[82:83]
	v_add_f64 v[72:73], v[72:73], v[64:65]
	v_add_f64 v[74:75], v[74:75], v[66:67]
	v_fma_f64 v[88:89], v[52:53], s[28:29], v[60:61]
	v_fma_f64 v[90:91], v[54:55], s[28:29], v[62:63]
	v_add_f64 v[68:69], v[68:69], v[64:65]
	v_add_f64 v[70:71], v[70:71], v[66:67]
	;; [unrolled: 4-line block ×3, first 2 shown]
	v_add_f64 v[52:53], v[82:83], v[72:73]
	v_add_f64 v[54:55], v[74:75], -v[80:81]
	v_add_f64 v[56:57], v[90:91], v[68:69]
	v_add_f64 v[58:59], v[70:71], -v[88:89]
	v_add_f64 v[68:69], v[68:69], -v[90:91]
	v_add_f64 v[70:71], v[88:89], v[70:71]
	v_add_f64 v[60:61], v[64:65], -v[86:87]
	v_add_f64 v[62:63], v[84:85], v[66:67]
	v_add_f64 v[64:65], v[86:87], v[64:65]
	v_add_f64 v[66:67], v[66:67], -v[84:85]
	v_add_f64 v[72:73], v[72:73], -v[82:83]
	v_add_f64 v[74:75], v[80:81], v[74:75]
	ds_write_b128 v161, v[48:51]
	ds_write_b128 v161, v[52:55] offset:208
	ds_write_b128 v161, v[56:59] offset:416
	;; [unrolled: 1-line block ×6, first 2 shown]
	v_mov_b32_e32 v49, s3
	v_mov_b32_e32 v48, s2
	v_mad_u64_u32 v[72:73], s[2:3], v246, s33, v[48:49]
	s_waitcnt lgkmcnt(0)
	s_barrier
	global_load_dwordx4 v[60:63], v[72:73], off offset:1248
	global_load_dwordx4 v[56:59], v[72:73], off offset:1264
	;; [unrolled: 1-line block ×6, first 2 shown]
	ds_read_b128 v[72:75], v245
	ds_read_b128 v[76:79], v245 offset:1456
	ds_read_b128 v[80:83], v245 offset:2912
	;; [unrolled: 1-line block ×6, first 2 shown]
	s_waitcnt vmcnt(5) lgkmcnt(5)
	v_mul_f64 v[100:101], v[78:79], v[62:63]
	v_mul_f64 v[102:103], v[76:77], v[62:63]
	s_waitcnt vmcnt(4) lgkmcnt(4)
	v_mul_f64 v[104:105], v[82:83], v[58:59]
	v_mul_f64 v[106:107], v[80:81], v[58:59]
	;; [unrolled: 3-line block ×3, first 2 shown]
	s_waitcnt vmcnt(0)
	v_mul_f64 v[121:122], v[94:95], v[70:71]
	v_mul_f64 v[123:124], v[92:93], v[70:71]
	;; [unrolled: 1-line block ×6, first 2 shown]
	v_fma_f64 v[76:77], v[76:77], v[60:61], -v[100:101]
	v_fma_f64 v[78:79], v[78:79], v[60:61], v[102:103]
	v_fma_f64 v[80:81], v[80:81], v[56:57], -v[104:105]
	v_fma_f64 v[82:83], v[82:83], v[56:57], v[106:107]
	;; [unrolled: 2-line block ×6, first 2 shown]
	v_add_f64 v[100:101], v[76:77], v[96:97]
	v_add_f64 v[102:103], v[78:79], v[98:99]
	v_add_f64 v[76:77], v[76:77], -v[96:97]
	v_add_f64 v[78:79], v[78:79], -v[98:99]
	v_add_f64 v[96:97], v[80:81], v[92:93]
	v_add_f64 v[98:99], v[82:83], v[94:95]
	v_add_f64 v[80:81], v[80:81], -v[92:93]
	v_add_f64 v[82:83], v[82:83], -v[94:95]
	;; [unrolled: 4-line block ×4, first 2 shown]
	v_add_f64 v[100:101], v[100:101], -v[92:93]
	v_add_f64 v[102:103], v[102:103], -v[94:95]
	v_add_f64 v[96:97], v[92:93], -v[96:97]
	v_add_f64 v[98:99], v[94:95], -v[98:99]
	v_add_f64 v[108:109], v[84:85], v[80:81]
	v_add_f64 v[110:111], v[86:87], v[82:83]
	v_add_f64 v[113:114], v[84:85], -v[80:81]
	v_add_f64 v[115:116], v[86:87], -v[82:83]
	;; [unrolled: 1-line block ×4, first 2 shown]
	v_add_f64 v[88:89], v[92:93], v[88:89]
	v_add_f64 v[90:91], v[94:95], v[90:91]
	v_add_f64 v[84:85], v[76:77], -v[84:85]
	v_add_f64 v[86:87], v[78:79], -v[86:87]
	v_add_f64 v[76:77], v[108:109], v[76:77]
	v_add_f64 v[78:79], v[110:111], v[78:79]
	v_mul_f64 v[92:93], v[100:101], s[10:11]
	v_mul_f64 v[94:95], v[102:103], s[10:11]
	;; [unrolled: 1-line block ×8, first 2 shown]
	v_add_f64 v[72:73], v[72:73], v[88:89]
	v_add_f64 v[74:75], v[74:75], v[90:91]
	v_fma_f64 v[96:97], v[96:97], s[8:9], v[92:93]
	v_fma_f64 v[98:99], v[98:99], s[8:9], v[94:95]
	v_fma_f64 v[100:101], v[104:105], s[22:23], -v[100:101]
	v_fma_f64 v[102:103], v[106:107], s[22:23], -v[102:103]
	;; [unrolled: 1-line block ×4, first 2 shown]
	v_fma_f64 v[104:105], v[84:85], s[26:27], v[108:109]
	v_fma_f64 v[106:107], v[86:87], s[26:27], v[110:111]
	v_fma_f64 v[80:81], v[80:81], s[16:17], -v[108:109]
	v_fma_f64 v[82:83], v[82:83], s[16:17], -v[110:111]
	;; [unrolled: 1-line block ×4, first 2 shown]
	v_fma_f64 v[88:89], v[88:89], s[18:19], v[72:73]
	v_fma_f64 v[90:91], v[90:91], s[18:19], v[74:75]
	;; [unrolled: 1-line block ×8, first 2 shown]
	v_add_f64 v[96:97], v[96:97], v[88:89]
	v_add_f64 v[98:99], v[98:99], v[90:91]
	v_add_f64 v[92:93], v[92:93], v[88:89]
	v_add_f64 v[94:95], v[94:95], v[90:91]
	v_add_f64 v[88:89], v[100:101], v[88:89]
	v_add_f64 v[90:91], v[102:103], v[90:91]
	v_add_f64 v[76:77], v[106:107], v[96:97]
	v_add_f64 v[78:79], v[98:99], -v[104:105]
	v_add_f64 v[80:81], v[115:116], v[92:93]
	v_add_f64 v[82:83], v[94:95], -v[113:114]
	v_add_f64 v[84:85], v[88:89], -v[110:111]
	v_add_f64 v[86:87], v[108:109], v[90:91]
	v_add_f64 v[88:89], v[110:111], v[88:89]
	v_add_f64 v[90:91], v[90:91], -v[108:109]
	v_add_f64 v[92:93], v[92:93], -v[115:116]
	v_add_f64 v[94:95], v[113:114], v[94:95]
	v_add_f64 v[96:97], v[96:97], -v[106:107]
	v_add_f64 v[98:99], v[104:105], v[98:99]
	ds_write_b128 v245, v[72:75]
	ds_write_b128 v245, v[76:79] offset:1456
	ds_write_b128 v245, v[80:83] offset:2912
	;; [unrolled: 1-line block ×6, first 2 shown]
	s_waitcnt lgkmcnt(0)
	s_barrier
	s_and_saveexec_b64 s[2:3], s[0:1]
	s_cbranch_execz .LBB0_9
; %bb.8:
	v_mov_b32_e32 v100, s15
	v_add_co_u32_e32 v133, vcc, s14, v245
	v_addc_co_u32_e32 v146, vcc, 0, v100, vcc
	v_add_co_u32_e32 v149, vcc, 0x27d0, v133
	v_addc_co_u32_e32 v150, vcc, 0, v146, vcc
	s_movk_i32 s8, 0x3000
	v_add_co_u32_e32 v121, vcc, s8, v133
	v_addc_co_u32_e32 v122, vcc, 0, v146, vcc
	s_movk_i32 s8, 0x4000
	v_add_co_u32_e32 v141, vcc, s8, v133
	v_addc_co_u32_e32 v142, vcc, 0, v146, vcc
	v_add_co_u32_e32 v145, vcc, 0x2000, v133
	v_addc_co_u32_e32 v146, vcc, 0, v146, vcc
	global_load_dwordx4 v[100:103], v[149:150], off offset:784
	global_load_dwordx4 v[104:107], v[149:150], off offset:1568
	;; [unrolled: 1-line block ×5, first 2 shown]
	s_nop 0
	global_load_dwordx4 v[121:124], v[121:122], off offset:3392
	s_nop 0
	global_load_dwordx4 v[125:128], v[141:142], off offset:80
	global_load_dwordx4 v[129:132], v[141:142], off offset:864
	;; [unrolled: 1-line block ×4, first 2 shown]
	s_nop 0
	global_load_dwordx4 v[141:144], v[141:142], off offset:3216
	s_nop 0
	global_load_dwordx4 v[145:148], v[145:146], off offset:2000
	;; [unrolled: 2-line block ×3, first 2 shown]
	ds_read_b128 v[153:156], v245
	ds_read_b128 v[157:160], v245 offset:784
	ds_read_b128 v[162:165], v245 offset:1568
	;; [unrolled: 1-line block ×12, first 2 shown]
	s_waitcnt vmcnt(12) lgkmcnt(11)
	v_mul_f64 v[206:207], v[159:160], v[102:103]
	v_mul_f64 v[102:103], v[157:158], v[102:103]
	s_waitcnt vmcnt(11) lgkmcnt(10)
	v_mul_f64 v[208:209], v[164:165], v[106:107]
	v_mul_f64 v[106:107], v[162:163], v[106:107]
	;; [unrolled: 3-line block ×8, first 2 shown]
	s_waitcnt vmcnt(1)
	v_mul_f64 v[143:144], v[155:156], v[147:148]
	v_mul_f64 v[147:148], v[153:154], v[147:148]
	s_waitcnt vmcnt(0)
	v_mul_f64 v[230:231], v[176:177], v[151:152]
	v_mul_f64 v[151:152], v[174:175], v[151:152]
	;; [unrolled: 1-line block ×6, first 2 shown]
	v_fma_f64 v[157:158], v[157:158], v[100:101], -v[206:207]
	v_fma_f64 v[159:160], v[159:160], v[100:101], v[102:103]
	v_mul_f64 v[224:225], v[200:201], v[139:140]
	v_mul_f64 v[139:140], v[198:199], v[139:140]
	v_fma_f64 v[100:101], v[162:163], v[104:105], -v[208:209]
	v_fma_f64 v[102:103], v[164:165], v[104:105], v[106:107]
	v_fma_f64 v[104:105], v[166:167], v[108:109], -v[210:211]
	v_fma_f64 v[106:107], v[168:169], v[108:109], v[110:111]
	;; [unrolled: 2-line block ×3, first 2 shown]
	v_fma_f64 v[115:116], v[180:181], v[117:118], v[119:120]
	v_fma_f64 v[119:120], v[184:185], v[121:122], v[123:124]
	;; [unrolled: 1-line block ×4, first 2 shown]
	v_fma_f64 v[147:148], v[174:175], v[149:150], -v[230:231]
	v_fma_f64 v[149:150], v[176:177], v[149:150], v[151:152]
	v_fma_f64 v[113:114], v[178:179], v[117:118], -v[214:215]
	v_fma_f64 v[117:118], v[182:183], v[121:122], -v[216:217]
	;; [unrolled: 1-line block ×5, first 2 shown]
	v_fma_f64 v[145:146], v[192:193], v[129:130], v[131:132]
	ds_write_b128 v245, v[157:160] offset:784
	ds_write_b128 v245, v[100:103] offset:1568
	;; [unrolled: 1-line block ×4, first 2 shown]
	ds_write_b128 v245, v[125:128]
	v_fma_f64 v[100:101], v[194:195], v[133:134], -v[222:223]
	v_fma_f64 v[102:103], v[196:197], v[133:134], v[135:136]
	v_fma_f64 v[104:105], v[198:199], v[137:138], -v[224:225]
	v_fma_f64 v[106:107], v[200:201], v[137:138], v[139:140]
	v_fma_f64 v[108:109], v[202:203], v[141:142], -v[226:227]
	v_fma_f64 v[110:111], v[204:205], v[141:142], v[228:229]
	ds_write_b128 v245, v[147:150] offset:3920
	ds_write_b128 v245, v[113:116] offset:4704
	;; [unrolled: 1-line block ×8, first 2 shown]
.LBB0_9:
	s_or_b64 exec, exec, s[2:3]
	s_waitcnt lgkmcnt(0)
	s_barrier
	s_and_saveexec_b64 s[2:3], s[0:1]
	s_cbranch_execz .LBB0_11
; %bb.10:
	ds_read_b128 v[72:75], v245
	ds_read_b128 v[76:79], v245 offset:784
	ds_read_b128 v[80:83], v245 offset:1568
	ds_read_b128 v[84:87], v245 offset:2352
	ds_read_b128 v[88:91], v245 offset:3136
	ds_read_b128 v[92:95], v245 offset:3920
	ds_read_b128 v[96:99], v245 offset:4704
	ds_read_b128 v[20:23], v245 offset:5488
	ds_read_b128 v[16:19], v245 offset:6272
	ds_read_b128 v[12:15], v245 offset:7056
	ds_read_b128 v[8:11], v245 offset:7840
	ds_read_b128 v[4:7], v245 offset:8624
	ds_read_b128 v[0:3], v245 offset:9408
.LBB0_11:
	s_or_b64 exec, exec, s[2:3]
	s_waitcnt lgkmcnt(0)
	s_barrier
	s_and_saveexec_b64 s[2:3], s[0:1]
	s_cbranch_execz .LBB0_13
; %bb.12:
	v_add_f64 v[159:160], v[76:77], -v[0:1]
	s_mov_b32 s20, 0x4bc48dbf
	s_mov_b32 s21, 0xbfcea1e5
	v_add_f64 v[157:158], v[80:81], -v[4:5]
	v_add_f64 v[127:128], v[78:79], v[2:3]
	s_mov_b32 s18, 0x93053d00
	s_mov_b32 s23, 0x3fddbe06
	;; [unrolled: 1-line block ×3, first 2 shown]
	v_mul_f64 v[108:109], v[159:160], s[20:21]
	s_mov_b32 s19, 0xbfef11f4
	v_add_f64 v[131:132], v[84:85], -v[8:9]
	v_mul_f64 v[110:111], v[157:158], s[22:23]
	v_add_f64 v[123:124], v[82:83], v[6:7]
	v_add_f64 v[139:140], v[78:79], -v[2:3]
	s_mov_b32 s28, 0x24c2f84
	s_mov_b32 s24, 0xe00740e9
	v_fma_f64 v[129:130], v[127:128], s[18:19], v[108:109]
	s_mov_b32 s29, 0xbfe5384d
	s_mov_b32 s25, 0x3fec55a7
	v_add_f64 v[121:122], v[88:89], -v[12:13]
	v_mul_f64 v[143:144], v[131:132], s[28:29]
	v_add_f64 v[125:126], v[86:87], v[10:11]
	v_fma_f64 v[133:134], v[123:124], s[24:25], v[110:111]
	v_add_f64 v[137:138], v[82:83], -v[6:7]
	v_add_f64 v[141:142], v[74:75], v[129:130]
	v_add_f64 v[135:136], v[76:77], v[0:1]
	v_mul_f64 v[149:150], v[139:140], s[20:21]
	s_mov_b32 s40, 0x42a4c3d2
	s_mov_b32 s26, 0xd0032e0c
	;; [unrolled: 1-line block ×4, first 2 shown]
	v_mul_f64 v[106:107], v[121:122], s[40:41]
	v_add_f64 v[129:130], v[90:91], v[14:15]
	v_fma_f64 v[145:146], v[125:126], s[26:27], v[143:144]
	v_add_f64 v[147:148], v[133:134], v[141:142]
	v_add_f64 v[141:142], v[86:87], -v[10:11]
	v_add_f64 v[133:134], v[80:81], v[4:5]
	v_mul_f64 v[162:163], v[137:138], s[22:23]
	v_fma_f64 v[153:154], v[135:136], s[18:19], -v[149:150]
	v_fma_f64 v[108:109], v[127:128], s[18:19], -v[108:109]
	s_mov_b32 s30, 0x1ea71119
	s_mov_b32 s31, 0x3fe22d96
	v_add_f64 v[119:120], v[92:93], -v[16:17]
	v_fma_f64 v[155:156], v[129:130], s[30:31], v[106:107]
	v_add_f64 v[145:146], v[145:146], v[147:148]
	v_add_f64 v[151:152], v[90:91], -v[14:15]
	v_add_f64 v[147:148], v[84:85], v[8:9]
	v_mul_f64 v[164:165], v[141:142], s[28:29]
	v_fma_f64 v[166:167], v[133:134], s[24:25], -v[162:163]
	v_add_f64 v[168:169], v[72:73], v[153:154]
	v_fma_f64 v[110:111], v[123:124], s[24:25], -v[110:111]
	v_add_f64 v[108:109], v[74:75], v[108:109]
	s_mov_b32 s16, 0x2ef20147
	s_mov_b32 s17, 0xbfedeba7
	v_add_f64 v[117:118], v[96:97], -v[20:21]
	v_add_f64 v[115:116], v[94:95], v[18:19]
	v_mul_f64 v[100:101], v[119:120], s[16:17]
	v_add_f64 v[170:171], v[155:156], v[145:146]
	v_add_f64 v[153:154], v[94:95], -v[18:19]
	v_add_f64 v[145:146], v[88:89], v[12:13]
	v_mul_f64 v[172:173], v[151:152], s[40:41]
	v_fma_f64 v[174:175], v[147:148], s[26:27], -v[164:165]
	v_add_f64 v[166:167], v[166:167], v[168:169]
	v_fma_f64 v[168:169], v[125:126], s[26:27], -v[143:144]
	v_add_f64 v[108:109], v[110:111], v[108:109]
	v_fma_f64 v[178:179], v[135:136], s[18:19], v[149:150]
	s_mov_b32 s34, 0x66966769
	s_mov_b32 s10, 0xb2365da1
	;; [unrolled: 1-line block ×4, first 2 shown]
	v_add_f64 v[113:114], v[98:99], v[22:23]
	v_mul_f64 v[102:103], v[117:118], s[34:35]
	v_fma_f64 v[104:105], v[115:116], s[10:11], v[100:101]
	v_add_f64 v[155:156], v[98:99], -v[22:23]
	v_add_f64 v[143:144], v[92:93], v[16:17]
	v_mul_f64 v[110:111], v[153:154], s[16:17]
	v_fma_f64 v[176:177], v[145:146], s[30:31], -v[172:173]
	v_add_f64 v[166:167], v[174:175], v[166:167]
	v_fma_f64 v[106:107], v[129:130], s[30:31], -v[106:107]
	v_add_f64 v[108:109], v[168:169], v[108:109]
	v_fma_f64 v[162:163], v[133:134], s[24:25], v[162:163]
	v_add_f64 v[178:179], v[72:73], v[178:179]
	s_mov_b32 s8, 0xebaa3ed8
	s_mov_b32 s9, 0x3fbedb7d
	v_add_f64 v[149:150], v[96:97], v[20:21]
	v_mul_f64 v[168:169], v[155:156], s[34:35]
	v_fma_f64 v[174:175], v[143:144], s[10:11], -v[110:111]
	v_add_f64 v[166:167], v[176:177], v[166:167]
	v_add_f64 v[106:107], v[106:107], v[108:109]
	v_fma_f64 v[108:109], v[113:114], s[8:9], v[102:103]
	v_add_f64 v[104:105], v[104:105], v[170:171]
	v_fma_f64 v[164:165], v[147:148], s[26:27], v[164:165]
	v_add_f64 v[162:163], v[162:163], v[178:179]
	v_mul_f64 v[176:177], v[159:160], s[28:29]
	v_fma_f64 v[100:101], v[115:116], s[10:11], -v[100:101]
	v_fma_f64 v[170:171], v[149:150], s[8:9], -v[168:169]
	v_add_f64 v[166:167], v[174:175], v[166:167]
	v_fma_f64 v[174:175], v[113:114], s[8:9], -v[102:103]
	v_add_f64 v[102:103], v[108:109], v[104:105]
	v_mul_f64 v[108:109], v[157:158], s[34:35]
	v_add_f64 v[162:163], v[164:165], v[162:163]
	v_fma_f64 v[164:165], v[127:128], s[26:27], v[176:177]
	v_fma_f64 v[176:177], v[127:128], s[26:27], -v[176:177]
	s_mov_b32 s37, 0xbfea55e2
	s_mov_b32 s36, s40
	v_add_f64 v[106:107], v[100:101], v[106:107]
	v_fma_f64 v[172:173], v[145:146], s[30:31], v[172:173]
	v_add_f64 v[100:101], v[170:171], v[166:167]
	v_fma_f64 v[104:105], v[149:150], s[8:9], v[168:169]
	v_mul_f64 v[166:167], v[139:140], s[28:29]
	v_mul_f64 v[168:169], v[131:132], s[36:37]
	v_fma_f64 v[170:171], v[123:124], s[8:9], v[108:109]
	v_add_f64 v[164:165], v[74:75], v[164:165]
	v_fma_f64 v[108:109], v[123:124], s[8:9], -v[108:109]
	v_add_f64 v[176:177], v[74:75], v[176:177]
	s_mov_b32 s45, 0x3fcea1e5
	s_mov_b32 s44, s20
	v_add_f64 v[106:107], v[174:175], v[106:107]
	v_add_f64 v[162:163], v[172:173], v[162:163]
	v_mul_f64 v[172:173], v[137:138], s[34:35]
	v_fma_f64 v[174:175], v[135:136], s[26:27], -v[166:167]
	v_mul_f64 v[178:179], v[121:122], s[44:45]
	v_fma_f64 v[180:181], v[125:126], s[30:31], v[168:169]
	v_add_f64 v[164:165], v[170:171], v[164:165]
	v_fma_f64 v[168:169], v[125:126], s[30:31], -v[168:169]
	v_add_f64 v[108:109], v[108:109], v[176:177]
	v_mul_f64 v[170:171], v[119:120], s[22:23]
	v_mul_f64 v[182:183], v[141:142], s[36:37]
	v_fma_f64 v[184:185], v[133:134], s[8:9], -v[172:173]
	v_add_f64 v[174:175], v[72:73], v[174:175]
	v_fma_f64 v[186:187], v[129:130], s[18:19], v[178:179]
	v_add_f64 v[164:165], v[180:181], v[164:165]
	v_fma_f64 v[178:179], v[129:130], s[18:19], -v[178:179]
	v_add_f64 v[108:109], v[168:169], v[108:109]
	v_fma_f64 v[166:167], v[135:136], s[26:27], v[166:167]
	v_fma_f64 v[110:111], v[143:144], s[10:11], v[110:111]
	v_mul_f64 v[180:181], v[117:118], s[16:17]
	v_mul_f64 v[188:189], v[151:152], s[44:45]
	v_fma_f64 v[190:191], v[147:148], s[30:31], -v[182:183]
	v_add_f64 v[174:175], v[184:185], v[174:175]
	v_fma_f64 v[184:185], v[115:116], s[24:25], v[170:171]
	v_add_f64 v[164:165], v[186:187], v[164:165]
	v_fma_f64 v[170:171], v[115:116], s[24:25], -v[170:171]
	v_add_f64 v[108:109], v[178:179], v[108:109]
	v_fma_f64 v[172:173], v[133:134], s[8:9], v[172:173]
	v_add_f64 v[166:167], v[72:73], v[166:167]
	v_add_f64 v[110:111], v[110:111], v[162:163]
	v_mul_f64 v[162:163], v[153:154], s[22:23]
	v_fma_f64 v[176:177], v[145:146], s[18:19], -v[188:189]
	v_add_f64 v[174:175], v[190:191], v[174:175]
	v_fma_f64 v[186:187], v[113:114], s[10:11], v[180:181]
	v_add_f64 v[164:165], v[184:185], v[164:165]
	v_mul_f64 v[178:179], v[159:160], s[16:17]
	v_add_f64 v[170:171], v[170:171], v[108:109]
	v_fma_f64 v[108:109], v[147:148], s[30:31], v[182:183]
	v_add_f64 v[166:167], v[172:173], v[166:167]
	v_mul_f64 v[172:173], v[139:140], s[16:17]
	s_mov_b32 s43, 0x3fe5384d
	s_mov_b32 s42, s28
	v_fma_f64 v[184:185], v[143:144], s[24:25], -v[162:163]
	v_add_f64 v[174:175], v[176:177], v[174:175]
	v_add_f64 v[104:105], v[104:105], v[110:111]
	;; [unrolled: 1-line block ×3, first 2 shown]
	v_fma_f64 v[176:177], v[113:114], s[10:11], -v[180:181]
	v_mul_f64 v[180:181], v[157:158], s[42:43]
	v_fma_f64 v[182:183], v[127:128], s[10:11], v[178:179]
	v_add_f64 v[108:109], v[108:109], v[166:167]
	v_mul_f64 v[186:187], v[137:138], s[42:43]
	v_fma_f64 v[166:167], v[135:136], s[10:11], -v[172:173]
	v_fma_f64 v[178:179], v[127:128], s[10:11], -v[178:179]
	v_add_f64 v[174:175], v[184:185], v[174:175]
	v_fma_f64 v[184:185], v[145:146], s[18:19], v[188:189]
	v_mul_f64 v[188:189], v[131:132], s[22:23]
	v_fma_f64 v[190:191], v[123:124], s[26:27], v[180:181]
	v_add_f64 v[182:183], v[74:75], v[182:183]
	v_mul_f64 v[192:193], v[141:142], s[22:23]
	v_fma_f64 v[194:195], v[133:134], s[26:27], -v[186:187]
	v_add_f64 v[166:167], v[72:73], v[166:167]
	v_fma_f64 v[180:181], v[123:124], s[26:27], -v[180:181]
	v_add_f64 v[178:179], v[74:75], v[178:179]
	s_mov_b32 s39, 0xbfefc445
	s_mov_b32 s38, s34
	v_mul_f64 v[168:169], v[155:156], s[16:17]
	v_mul_f64 v[196:197], v[121:122], s[38:39]
	v_fma_f64 v[198:199], v[125:126], s[24:25], v[188:189]
	v_add_f64 v[182:183], v[190:191], v[182:183]
	v_add_f64 v[108:109], v[184:185], v[108:109]
	v_mul_f64 v[184:185], v[151:152], s[38:39]
	v_fma_f64 v[190:191], v[147:148], s[24:25], -v[192:193]
	v_add_f64 v[166:167], v[194:195], v[166:167]
	v_fma_f64 v[188:189], v[125:126], s[24:25], -v[188:189]
	v_add_f64 v[178:179], v[180:181], v[178:179]
	v_fma_f64 v[164:165], v[149:150], s[10:11], -v[168:169]
	v_fma_f64 v[162:163], v[143:144], s[24:25], v[162:163]
	v_mul_f64 v[194:195], v[119:120], s[44:45]
	v_fma_f64 v[200:201], v[129:130], s[8:9], v[196:197]
	v_add_f64 v[182:183], v[198:199], v[182:183]
	v_mul_f64 v[198:199], v[153:154], s[44:45]
	v_fma_f64 v[202:203], v[145:146], s[8:9], -v[184:185]
	v_add_f64 v[166:167], v[190:191], v[166:167]
	v_fma_f64 v[196:197], v[129:130], s[8:9], -v[196:197]
	v_add_f64 v[178:179], v[188:189], v[178:179]
	v_mul_f64 v[190:191], v[117:118], s[40:41]
	v_fma_f64 v[204:205], v[115:116], s[18:19], v[194:195]
	v_add_f64 v[182:183], v[200:201], v[182:183]
	v_mul_f64 v[180:181], v[155:156], s[40:41]
	v_fma_f64 v[200:201], v[143:144], s[18:19], -v[198:199]
	v_add_f64 v[166:167], v[202:203], v[166:167]
	v_add_f64 v[162:163], v[162:163], v[108:109]
	;; [unrolled: 1-line block ×4, first 2 shown]
	v_fma_f64 v[170:171], v[135:136], s[10:11], v[172:173]
	v_fma_f64 v[172:173], v[115:116], s[18:19], -v[194:195]
	v_add_f64 v[174:175], v[196:197], v[178:179]
	v_fma_f64 v[168:169], v[149:150], s[10:11], v[168:169]
	v_fma_f64 v[202:203], v[113:114], s[30:31], v[190:191]
	v_add_f64 v[182:183], v[204:205], v[182:183]
	v_fma_f64 v[188:189], v[149:150], s[30:31], -v[180:181]
	v_add_f64 v[166:167], v[200:201], v[166:167]
	v_fma_f64 v[176:177], v[133:134], s[26:27], v[186:187]
	v_mul_f64 v[178:179], v[159:160], s[38:39]
	v_add_f64 v[170:171], v[72:73], v[170:171]
	v_add_f64 v[172:173], v[172:173], v[174:175]
	v_fma_f64 v[174:175], v[145:146], s[8:9], v[184:185]
	v_mul_f64 v[184:185], v[139:140], s[38:39]
	v_add_f64 v[162:163], v[168:169], v[162:163]
	v_add_f64 v[168:169], v[202:203], v[182:183]
	v_add_f64 v[166:167], v[188:189], v[166:167]
	v_fma_f64 v[182:183], v[113:114], s[30:31], -v[190:191]
	v_fma_f64 v[186:187], v[147:148], s[24:25], v[192:193]
	v_mul_f64 v[188:189], v[157:158], s[20:21]
	v_fma_f64 v[190:191], v[127:128], s[8:9], v[178:179]
	v_add_f64 v[170:171], v[176:177], v[170:171]
	v_mul_f64 v[192:193], v[137:138], s[20:21]
	v_fma_f64 v[176:177], v[135:136], s[8:9], -v[184:185]
	s_mov_b32 s41, 0x3fedeba7
	s_mov_b32 s40, s16
	v_mul_f64 v[194:195], v[131:132], s[40:41]
	v_fma_f64 v[196:197], v[123:124], s[18:19], v[188:189]
	v_add_f64 v[190:191], v[74:75], v[190:191]
	v_add_f64 v[170:171], v[186:187], v[170:171]
	v_fma_f64 v[186:187], v[143:144], s[18:19], v[198:199]
	v_mul_f64 v[198:199], v[141:142], s[40:41]
	v_fma_f64 v[200:201], v[133:134], s[18:19], -v[192:193]
	v_add_f64 v[176:177], v[72:73], v[176:177]
	v_mul_f64 v[202:203], v[121:122], s[22:23]
	v_fma_f64 v[204:205], v[125:126], s[10:11], v[194:195]
	v_add_f64 v[190:191], v[196:197], v[190:191]
	v_add_f64 v[170:171], v[174:175], v[170:171]
	v_mul_f64 v[196:197], v[151:152], s[22:23]
	v_fma_f64 v[174:175], v[147:148], s[10:11], -v[198:199]
	v_fma_f64 v[178:179], v[127:128], s[8:9], -v[178:179]
	v_add_f64 v[176:177], v[200:201], v[176:177]
	v_mul_f64 v[200:201], v[119:120], s[36:37]
	v_fma_f64 v[206:207], v[129:130], s[24:25], v[202:203]
	v_add_f64 v[190:191], v[204:205], v[190:191]
	v_mul_f64 v[204:205], v[153:154], s[36:37]
	v_fma_f64 v[208:209], v[145:146], s[24:25], -v[196:197]
	v_fma_f64 v[188:189], v[123:124], s[18:19], -v[188:189]
	v_add_f64 v[178:179], v[74:75], v[178:179]
	v_add_f64 v[174:175], v[174:175], v[176:177]
	v_mul_f64 v[210:211], v[117:118], s[28:29]
	v_fma_f64 v[176:177], v[115:116], s[30:31], v[200:201]
	v_add_f64 v[190:191], v[206:207], v[190:191]
	v_mul_f64 v[206:207], v[155:156], s[28:29]
	v_fma_f64 v[212:213], v[143:144], s[30:31], -v[204:205]
	v_fma_f64 v[194:195], v[125:126], s[10:11], -v[194:195]
	v_add_f64 v[178:179], v[188:189], v[178:179]
	v_add_f64 v[174:175], v[208:209], v[174:175]
	v_fma_f64 v[180:181], v[149:150], s[30:31], v[180:181]
	v_add_f64 v[170:171], v[186:187], v[170:171]
	v_fma_f64 v[186:187], v[113:114], s[26:27], v[210:211]
	v_add_f64 v[176:177], v[176:177], v[190:191]
	v_fma_f64 v[188:189], v[149:150], s[26:27], -v[206:207]
	v_fma_f64 v[190:191], v[129:130], s[24:25], -v[202:203]
	v_add_f64 v[178:179], v[194:195], v[178:179]
	v_add_f64 v[174:175], v[212:213], v[174:175]
	;; [unrolled: 1-line block ×4, first 2 shown]
	v_fma_f64 v[180:181], v[135:136], s[8:9], v[184:185]
	v_mul_f64 v[184:185], v[159:160], s[36:37]
	v_add_f64 v[176:177], v[186:187], v[176:177]
	v_fma_f64 v[182:183], v[115:116], s[30:31], -v[200:201]
	v_add_f64 v[178:179], v[190:191], v[178:179]
	v_add_f64 v[174:175], v[188:189], v[174:175]
	v_fma_f64 v[186:187], v[133:134], s[18:19], v[192:193]
	v_mul_f64 v[188:189], v[139:140], s[36:37]
	v_add_f64 v[180:181], v[72:73], v[180:181]
	v_mul_f64 v[192:193], v[157:158], s[16:17]
	v_fma_f64 v[194:195], v[127:128], s[30:31], v[184:185]
	v_add_f64 v[78:79], v[74:75], v[78:79]
	v_add_f64 v[178:179], v[182:183], v[178:179]
	v_fma_f64 v[182:183], v[147:148], s[10:11], v[198:199]
	v_mul_f64 v[198:199], v[137:138], s[16:17]
	v_fma_f64 v[200:201], v[135:136], s[30:31], -v[188:189]
	v_add_f64 v[180:181], v[186:187], v[180:181]
	v_mul_f64 v[186:187], v[131:132], s[20:21]
	v_fma_f64 v[202:203], v[123:124], s[10:11], v[192:193]
	v_add_f64 v[194:195], v[74:75], v[194:195]
	v_add_f64 v[76:77], v[72:73], v[76:77]
	v_fma_f64 v[190:191], v[113:114], s[26:27], -v[210:211]
	v_mul_f64 v[208:209], v[141:142], s[20:21]
	v_fma_f64 v[210:211], v[133:134], s[10:11], -v[198:199]
	v_add_f64 v[200:201], v[72:73], v[200:201]
	v_add_f64 v[180:181], v[182:183], v[180:181]
	v_mul_f64 v[182:183], v[121:122], s[42:43]
	v_fma_f64 v[212:213], v[125:126], s[18:19], v[186:187]
	v_add_f64 v[194:195], v[202:203], v[194:195]
	v_add_f64 v[78:79], v[78:79], v[82:83]
	;; [unrolled: 1-line block ×3, first 2 shown]
	v_fma_f64 v[214:215], v[147:148], s[18:19], -v[208:209]
	v_add_f64 v[200:201], v[210:211], v[200:201]
	v_fma_f64 v[184:185], v[127:128], s[30:31], -v[184:185]
	v_fma_f64 v[210:211], v[129:130], s[26:27], v[182:183]
	v_fma_f64 v[192:193], v[123:124], s[10:11], -v[192:193]
	v_add_f64 v[194:195], v[212:213], v[194:195]
	v_add_f64 v[78:79], v[78:79], v[86:87]
	;; [unrolled: 1-line block ×3, first 2 shown]
	v_fma_f64 v[188:189], v[135:136], s[30:31], v[188:189]
	v_add_f64 v[200:201], v[214:215], v[200:201]
	v_mul_f64 v[214:215], v[117:118], s[22:23]
	v_add_f64 v[184:185], v[74:75], v[184:185]
	v_fma_f64 v[186:187], v[125:126], s[18:19], -v[186:187]
	v_add_f64 v[194:195], v[210:211], v[194:195]
	v_mul_f64 v[210:211], v[155:156], s[22:23]
	s_mov_b32 s23, 0xbfddbe06
	v_add_f64 v[78:79], v[78:79], v[90:91]
	v_add_f64 v[88:89], v[76:77], v[88:89]
	v_mul_f64 v[159:160], v[159:160], s[22:23]
	v_add_f64 v[184:185], v[192:193], v[184:185]
	v_fma_f64 v[192:193], v[133:134], s[10:11], v[198:199]
	v_add_f64 v[188:189], v[72:73], v[188:189]
	v_mul_f64 v[157:158], v[157:158], s[36:37]
	v_fma_f64 v[202:203], v[143:144], s[30:31], v[204:205]
	v_add_f64 v[78:79], v[78:79], v[94:95]
	v_add_f64 v[88:89], v[88:89], v[92:93]
	v_fma_f64 v[198:199], v[127:128], s[24:25], v[159:160]
	v_mul_f64 v[92:93], v[139:140], s[22:23]
	v_mul_f64 v[204:205], v[151:152], s[42:43]
	v_fma_f64 v[182:183], v[129:130], s[26:27], -v[182:183]
	v_add_f64 v[184:185], v[186:187], v[184:185]
	v_fma_f64 v[186:187], v[147:148], s[18:19], v[208:209]
	v_add_f64 v[78:79], v[78:79], v[98:99]
	v_add_f64 v[88:89], v[88:89], v[96:97]
	;; [unrolled: 1-line block ×3, first 2 shown]
	v_mul_f64 v[131:132], v[131:132], s[38:39]
	v_fma_f64 v[192:193], v[123:124], s[30:31], v[157:158]
	v_add_f64 v[198:199], v[74:75], v[198:199]
	v_fma_f64 v[127:128], v[127:128], s[24:25], -v[159:160]
	v_mul_f64 v[137:138], v[137:138], s[36:37]
	v_fma_f64 v[96:97], v[135:136], s[24:25], v[92:93]
	v_fma_f64 v[92:93], v[135:136], s[24:25], -v[92:93]
	v_add_f64 v[22:23], v[78:79], v[22:23]
	v_add_f64 v[20:21], v[88:89], v[20:21]
	v_fma_f64 v[196:197], v[145:146], s[24:25], v[196:197]
	v_mul_f64 v[212:213], v[153:154], s[34:35]
	v_add_f64 v[80:81], v[182:183], v[184:185]
	v_fma_f64 v[82:83], v[145:146], s[26:27], v[204:205]
	v_add_f64 v[182:183], v[186:187], v[188:189]
	v_mul_f64 v[121:122], v[121:122], s[16:17]
	v_fma_f64 v[184:185], v[125:126], s[8:9], v[131:132]
	v_add_f64 v[186:187], v[192:193], v[198:199]
	v_mul_f64 v[98:99], v[141:142], s[38:39]
	v_fma_f64 v[123:124], v[123:124], s[30:31], -v[157:158]
	v_add_f64 v[74:75], v[74:75], v[127:128]
	v_fma_f64 v[127:128], v[133:134], s[30:31], v[137:138]
	v_add_f64 v[78:79], v[72:73], v[96:97]
	v_fma_f64 v[88:89], v[133:134], s[30:31], -v[137:138]
	v_add_f64 v[72:73], v[72:73], v[92:93]
	v_add_f64 v[18:19], v[22:23], v[18:19]
	;; [unrolled: 1-line block ×4, first 2 shown]
	v_mul_f64 v[196:197], v[119:120], s[34:35]
	v_fma_f64 v[84:85], v[143:144], s[8:9], v[212:213]
	v_add_f64 v[82:83], v[82:83], v[182:183]
	v_mul_f64 v[86:87], v[119:120], s[28:29]
	v_fma_f64 v[119:120], v[129:130], s[10:11], v[121:122]
	v_add_f64 v[182:183], v[184:185], v[186:187]
	v_mul_f64 v[139:140], v[151:152], s[16:17]
	v_fma_f64 v[92:93], v[125:126], s[8:9], -v[131:132]
	v_add_f64 v[74:75], v[123:124], v[74:75]
	v_fma_f64 v[96:97], v[147:148], s[8:9], v[98:99]
	v_add_f64 v[20:21], v[127:128], v[78:79]
	v_fma_f64 v[22:23], v[147:148], s[8:9], -v[98:99]
	v_add_f64 v[72:73], v[88:89], v[72:73]
	v_add_f64 v[14:15], v[18:19], v[14:15]
	;; [unrolled: 1-line block ×4, first 2 shown]
	v_mul_f64 v[84:85], v[117:118], s[20:21]
	v_add_f64 v[117:118], v[119:120], v[182:183]
	v_mul_f64 v[119:120], v[153:154], s[28:29]
	v_fma_f64 v[78:79], v[129:130], s[10:11], -v[121:122]
	v_add_f64 v[74:75], v[92:93], v[74:75]
	v_fma_f64 v[88:89], v[145:146], s[10:11], v[139:140]
	v_add_f64 v[16:17], v[96:97], v[20:21]
	v_fma_f64 v[206:207], v[149:150], s[26:27], v[206:207]
	;; [unrolled: 2-line block ×3, first 2 shown]
	v_fma_f64 v[196:197], v[115:116], s[8:9], -v[196:197]
	v_fma_f64 v[216:217], v[145:146], s[26:27], -v[204:205]
	;; [unrolled: 1-line block ×3, first 2 shown]
	v_add_f64 v[20:21], v[22:23], v[72:73]
	v_add_f64 v[10:11], v[14:15], v[10:11]
	;; [unrolled: 1-line block ×3, first 2 shown]
	v_mul_f64 v[94:95], v[155:156], s[20:21]
	v_fma_f64 v[22:23], v[115:116], s[26:27], -v[86:87]
	v_add_f64 v[72:73], v[78:79], v[74:75]
	v_fma_f64 v[74:75], v[143:144], s[26:27], v[119:120]
	v_add_f64 v[12:13], v[88:89], v[16:17]
	v_add_f64 v[180:181], v[190:191], v[178:179]
	;; [unrolled: 1-line block ×3, first 2 shown]
	v_fma_f64 v[206:207], v[113:114], s[24:25], -v[214:215]
	v_add_f64 v[80:81], v[196:197], v[80:81]
	v_fma_f64 v[220:221], v[143:144], s[8:9], -v[212:213]
	v_add_f64 v[200:201], v[216:217], v[200:201]
	v_fma_f64 v[90:91], v[115:116], s[26:27], v[86:87]
	v_fma_f64 v[14:15], v[143:144], s[26:27], -v[119:120]
	v_add_f64 v[16:17], v[18:19], v[20:21]
	v_add_f64 v[6:7], v[10:11], v[6:7]
	v_add_f64 v[10:11], v[8:9], v[4:5]
	v_fma_f64 v[18:19], v[113:114], s[18:19], -v[84:85]
	v_add_f64 v[20:21], v[22:23], v[72:73]
	v_fma_f64 v[22:23], v[149:150], s[18:19], v[94:95]
	v_add_f64 v[12:13], v[74:75], v[12:13]
	v_add_f64 v[76:77], v[206:207], v[80:81]
	v_fma_f64 v[80:81], v[149:150], s[24:25], v[210:211]
	v_fma_f64 v[190:191], v[113:114], s[24:25], v[214:215]
	v_add_f64 v[194:195], v[218:219], v[194:195]
	v_fma_f64 v[202:203], v[149:150], s[24:25], -v[210:211]
	v_add_f64 v[200:201], v[220:221], v[200:201]
	v_fma_f64 v[72:73], v[113:114], s[18:19], v[84:85]
	v_add_f64 v[78:79], v[90:91], v[117:118]
	v_fma_f64 v[84:85], v[149:150], s[18:19], -v[94:95]
	v_add_f64 v[14:15], v[14:15], v[16:17]
	v_add_f64 v[8:9], v[6:7], v[2:3]
	;; [unrolled: 1-line block ×6, first 2 shown]
	v_lshlrev_b32_e32 v0, 4, v247
	v_add_f64 v[12:13], v[190:191], v[194:195]
	v_add_f64 v[10:11], v[202:203], v[200:201]
	;; [unrolled: 1-line block ×4, first 2 shown]
	ds_write_b128 v0, v[6:9]
	ds_write_b128 v0, v[2:5] offset:16
	ds_write_b128 v0, v[74:77] offset:32
	;; [unrolled: 1-line block ×12, first 2 shown]
.LBB0_13:
	s_or_b64 exec, exec, s[2:3]
	s_waitcnt lgkmcnt(0)
	s_barrier
	ds_read_b128 v[0:3], v245 offset:1456
	ds_read_b128 v[4:7], v245 offset:2912
	;; [unrolled: 1-line block ×3, first 2 shown]
	ds_read_b128 v[12:15], v245
	ds_read_b128 v[16:19], v245 offset:5824
	ds_read_b128 v[20:23], v245 offset:7280
	;; [unrolled: 1-line block ×3, first 2 shown]
	s_mov_b32 s8, 0x37e14327
	s_waitcnt lgkmcnt(6)
	v_mul_f64 v[76:77], v[38:39], v[2:3]
	v_mul_f64 v[38:39], v[38:39], v[0:1]
	s_waitcnt lgkmcnt(5)
	v_mul_f64 v[78:79], v[34:35], v[6:7]
	v_mul_f64 v[34:35], v[34:35], v[4:5]
	s_mov_b32 s2, 0x36b3c0b5
	s_mov_b32 s16, 0xe976ee23
	;; [unrolled: 1-line block ×4, first 2 shown]
	v_fma_f64 v[0:1], v[36:37], v[0:1], v[76:77]
	v_fma_f64 v[2:3], v[36:37], v[2:3], -v[38:39]
	v_fma_f64 v[4:5], v[32:33], v[4:5], v[78:79]
	v_fma_f64 v[6:7], v[32:33], v[6:7], -v[34:35]
	s_waitcnt lgkmcnt(0)
	v_mul_f64 v[32:33], v[42:43], v[74:75]
	v_mul_f64 v[34:35], v[42:43], v[72:73]
	;; [unrolled: 1-line block ×8, first 2 shown]
	v_fma_f64 v[32:33], v[40:41], v[72:73], v[32:33]
	v_fma_f64 v[34:35], v[40:41], v[74:75], -v[34:35]
	v_fma_f64 v[20:21], v[44:45], v[20:21], v[38:39]
	v_fma_f64 v[22:23], v[44:45], v[22:23], -v[42:43]
	;; [unrolled: 2-line block ×4, first 2 shown]
	v_add_f64 v[24:25], v[0:1], v[32:33]
	v_add_f64 v[26:27], v[2:3], v[34:35]
	;; [unrolled: 1-line block ×4, first 2 shown]
	v_add_f64 v[4:5], v[4:5], -v[20:21]
	v_add_f64 v[6:7], v[6:7], -v[22:23]
	v_add_f64 v[20:21], v[8:9], v[16:17]
	v_add_f64 v[22:23], v[10:11], v[18:19]
	v_add_f64 v[8:9], v[16:17], -v[8:9]
	v_add_f64 v[10:11], v[18:19], -v[10:11]
	v_add_f64 v[16:17], v[28:29], v[24:25]
	v_add_f64 v[18:19], v[30:31], v[26:27]
	v_add_f64 v[0:1], v[0:1], -v[32:33]
	v_add_f64 v[2:3], v[2:3], -v[34:35]
	v_add_f64 v[32:33], v[28:29], -v[24:25]
	v_add_f64 v[34:35], v[30:31], -v[26:27]
	v_add_f64 v[24:25], v[24:25], -v[20:21]
	v_add_f64 v[26:27], v[26:27], -v[22:23]
	v_add_f64 v[28:29], v[20:21], -v[28:29]
	v_add_f64 v[30:31], v[22:23], -v[30:31]
	v_add_f64 v[36:37], v[8:9], v[4:5]
	v_add_f64 v[38:39], v[10:11], v[6:7]
	v_add_f64 v[40:41], v[8:9], -v[4:5]
	v_add_f64 v[42:43], v[10:11], -v[6:7]
	v_add_f64 v[16:17], v[20:21], v[16:17]
	v_add_f64 v[18:19], v[22:23], v[18:19]
	v_add_f64 v[4:5], v[4:5], -v[0:1]
	v_add_f64 v[6:7], v[6:7], -v[2:3]
	s_mov_b32 s17, 0x3fe11646
	s_mov_b32 s10, 0x429ad128
	v_add_f64 v[8:9], v[0:1], -v[8:9]
	v_add_f64 v[10:11], v[2:3], -v[10:11]
	v_add_f64 v[20:21], v[36:37], v[0:1]
	v_add_f64 v[22:23], v[38:39], v[2:3]
	;; [unrolled: 1-line block ×4, first 2 shown]
	v_mul_f64 v[12:13], v[24:25], s[8:9]
	v_mul_f64 v[14:15], v[26:27], s[8:9]
	;; [unrolled: 1-line block ×6, first 2 shown]
	s_mov_b32 s11, 0xbfebfeb5
	v_mul_f64 v[40:41], v[4:5], s[10:11]
	v_mul_f64 v[42:43], v[6:7], s[10:11]
	s_mov_b32 s18, 0xaaaaaaaa
	s_mov_b32 s20, 0x5476071b
	;; [unrolled: 1-line block ×8, first 2 shown]
	v_fma_f64 v[16:17], v[16:17], s[18:19], v[0:1]
	v_fma_f64 v[18:19], v[18:19], s[18:19], v[2:3]
	;; [unrolled: 1-line block ×4, first 2 shown]
	v_fma_f64 v[24:25], v[32:33], s[20:21], -v[24:25]
	v_fma_f64 v[26:27], v[34:35], s[20:21], -v[26:27]
	;; [unrolled: 1-line block ×4, first 2 shown]
	v_fma_f64 v[32:33], v[8:9], s[24:25], v[36:37]
	v_fma_f64 v[34:35], v[10:11], s[24:25], v[38:39]
	s_mov_b32 s29, 0x3fd5d0dc
	s_mov_b32 s28, s24
	v_fma_f64 v[8:9], v[8:9], s[28:29], -v[40:41]
	v_fma_f64 v[10:11], v[10:11], s[28:29], -v[42:43]
	;; [unrolled: 1-line block ×4, first 2 shown]
	s_mov_b32 s26, 0x37c3f68c
	s_mov_b32 s27, 0xbfdc38aa
	v_add_f64 v[28:29], v[28:29], v[16:17]
	v_add_f64 v[30:31], v[30:31], v[18:19]
	v_fma_f64 v[34:35], v[22:23], s[26:27], v[34:35]
	v_fma_f64 v[32:33], v[20:21], s[26:27], v[32:33]
	v_add_f64 v[36:37], v[12:13], v[16:17]
	v_add_f64 v[38:39], v[14:15], v[18:19]
	v_fma_f64 v[40:41], v[22:23], s[26:27], v[10:11]
	v_fma_f64 v[42:43], v[20:21], s[26:27], v[8:9]
	;; [unrolled: 4-line block ×3, first 2 shown]
	v_add_f64 v[4:5], v[34:35], v[28:29]
	v_add_f64 v[6:7], v[30:31], -v[32:33]
	v_add_f64 v[8:9], v[40:41], v[36:37]
	v_add_f64 v[10:11], v[38:39], -v[42:43]
	v_add_f64 v[20:21], v[36:37], -v[40:41]
	v_add_f64 v[22:23], v[42:43], v[38:39]
	v_add_f64 v[12:13], v[24:25], -v[16:17]
	v_add_f64 v[14:15], v[18:19], v[26:27]
	v_add_f64 v[16:17], v[16:17], v[24:25]
	v_add_f64 v[18:19], v[26:27], -v[18:19]
	v_add_f64 v[24:25], v[28:29], -v[34:35]
	v_add_f64 v[26:27], v[32:33], v[30:31]
	s_barrier
	ds_write_b128 v161, v[0:3]
	ds_write_b128 v161, v[4:7] offset:208
	ds_write_b128 v161, v[8:11] offset:416
	;; [unrolled: 1-line block ×6, first 2 shown]
	s_waitcnt lgkmcnt(0)
	s_barrier
	ds_read_b128 v[0:3], v245 offset:1456
	ds_read_b128 v[4:7], v245 offset:2912
	;; [unrolled: 1-line block ×3, first 2 shown]
	ds_read_b128 v[12:15], v245
	ds_read_b128 v[16:19], v245 offset:5824
	ds_read_b128 v[20:23], v245 offset:7280
	;; [unrolled: 1-line block ×3, first 2 shown]
	s_waitcnt lgkmcnt(6)
	v_mul_f64 v[28:29], v[62:63], v[2:3]
	v_mul_f64 v[30:31], v[62:63], v[0:1]
	s_waitcnt lgkmcnt(5)
	v_mul_f64 v[32:33], v[58:59], v[6:7]
	v_mul_f64 v[34:35], v[58:59], v[4:5]
	;; [unrolled: 3-line block ×3, first 2 shown]
	v_mul_f64 v[40:41], v[50:51], v[18:19]
	v_mul_f64 v[42:43], v[50:51], v[16:17]
	v_fma_f64 v[0:1], v[60:61], v[0:1], v[28:29]
	v_fma_f64 v[2:3], v[60:61], v[2:3], -v[30:31]
	s_waitcnt lgkmcnt(0)
	v_mul_f64 v[28:29], v[66:67], v[26:27]
	v_mul_f64 v[30:31], v[66:67], v[24:25]
	v_fma_f64 v[4:5], v[56:57], v[4:5], v[32:33]
	v_fma_f64 v[6:7], v[56:57], v[6:7], -v[34:35]
	v_mul_f64 v[32:33], v[54:55], v[10:11]
	v_mul_f64 v[34:35], v[54:55], v[8:9]
	v_fma_f64 v[20:21], v[68:69], v[20:21], v[36:37]
	v_fma_f64 v[22:23], v[68:69], v[22:23], -v[38:39]
	v_fma_f64 v[24:25], v[64:65], v[24:25], v[28:29]
	v_fma_f64 v[26:27], v[64:65], v[26:27], -v[30:31]
	v_fma_f64 v[16:17], v[48:49], v[16:17], v[40:41]
	v_fma_f64 v[18:19], v[48:49], v[18:19], -v[42:43]
	v_fma_f64 v[8:9], v[52:53], v[8:9], v[32:33]
	v_fma_f64 v[10:11], v[52:53], v[10:11], -v[34:35]
	v_add_f64 v[28:29], v[0:1], v[24:25]
	v_add_f64 v[30:31], v[2:3], v[26:27]
	v_add_f64 v[0:1], v[0:1], -v[24:25]
	v_add_f64 v[2:3], v[2:3], -v[26:27]
	v_add_f64 v[24:25], v[4:5], v[20:21]
	v_add_f64 v[26:27], v[6:7], v[22:23]
	v_add_f64 v[4:5], v[4:5], -v[20:21]
	v_add_f64 v[6:7], v[6:7], -v[22:23]
	;; [unrolled: 4-line block ×4, first 2 shown]
	v_add_f64 v[28:29], v[28:29], -v[20:21]
	v_add_f64 v[30:31], v[30:31], -v[22:23]
	;; [unrolled: 1-line block ×4, first 2 shown]
	v_add_f64 v[36:37], v[8:9], v[4:5]
	v_add_f64 v[38:39], v[10:11], v[6:7]
	v_add_f64 v[40:41], v[8:9], -v[4:5]
	v_add_f64 v[42:43], v[10:11], -v[6:7]
	v_add_f64 v[16:17], v[20:21], v[16:17]
	v_add_f64 v[18:19], v[22:23], v[18:19]
	v_add_f64 v[4:5], v[4:5], -v[0:1]
	v_add_f64 v[6:7], v[6:7], -v[2:3]
	;; [unrolled: 1-line block ×4, first 2 shown]
	v_add_f64 v[20:21], v[36:37], v[0:1]
	v_add_f64 v[22:23], v[38:39], v[2:3]
	;; [unrolled: 1-line block ×4, first 2 shown]
	v_mul_f64 v[12:13], v[28:29], s[8:9]
	v_mul_f64 v[14:15], v[30:31], s[8:9]
	;; [unrolled: 1-line block ×8, first 2 shown]
	v_fma_f64 v[16:17], v[16:17], s[18:19], v[0:1]
	v_fma_f64 v[18:19], v[18:19], s[18:19], v[2:3]
	v_fma_f64 v[24:25], v[24:25], s[2:3], v[12:13]
	v_fma_f64 v[26:27], v[26:27], s[2:3], v[14:15]
	v_fma_f64 v[28:29], v[32:33], s[20:21], -v[28:29]
	v_fma_f64 v[30:31], v[34:35], s[20:21], -v[30:31]
	;; [unrolled: 1-line block ×4, first 2 shown]
	v_fma_f64 v[32:33], v[8:9], s[24:25], v[36:37]
	v_fma_f64 v[34:35], v[10:11], s[24:25], v[38:39]
	v_fma_f64 v[8:9], v[8:9], s[28:29], -v[40:41]
	v_fma_f64 v[10:11], v[10:11], s[28:29], -v[42:43]
	;; [unrolled: 1-line block ×4, first 2 shown]
	v_add_f64 v[24:25], v[24:25], v[16:17]
	v_add_f64 v[26:27], v[26:27], v[18:19]
	v_fma_f64 v[32:33], v[20:21], s[26:27], v[32:33]
	v_fma_f64 v[34:35], v[22:23], s[26:27], v[34:35]
	v_add_f64 v[36:37], v[12:13], v[16:17]
	v_add_f64 v[38:39], v[14:15], v[18:19]
	v_fma_f64 v[40:41], v[22:23], s[26:27], v[10:11]
	v_fma_f64 v[42:43], v[20:21], s[26:27], v[8:9]
	;; [unrolled: 4-line block ×3, first 2 shown]
	v_add_f64 v[4:5], v[34:35], v[24:25]
	v_add_f64 v[6:7], v[26:27], -v[32:33]
	v_add_f64 v[8:9], v[40:41], v[36:37]
	v_add_f64 v[10:11], v[38:39], -v[42:43]
	v_add_f64 v[20:21], v[36:37], -v[40:41]
	v_add_f64 v[22:23], v[42:43], v[38:39]
	v_add_f64 v[12:13], v[28:29], -v[16:17]
	v_add_f64 v[14:15], v[18:19], v[30:31]
	v_add_f64 v[16:17], v[16:17], v[28:29]
	v_add_f64 v[18:19], v[30:31], -v[18:19]
	v_add_f64 v[24:25], v[24:25], -v[34:35]
	v_add_f64 v[26:27], v[32:33], v[26:27]
	ds_write_b128 v245, v[0:3]
	ds_write_b128 v245, v[4:7] offset:1456
	ds_write_b128 v245, v[8:11] offset:2912
	;; [unrolled: 1-line block ×6, first 2 shown]
	s_waitcnt lgkmcnt(0)
	s_barrier
	s_and_b64 exec, exec, s[0:1]
	s_cbranch_execz .LBB0_15
; %bb.14:
	global_load_dwordx4 v[0:3], v245, s[14:15]
	global_load_dwordx4 v[4:7], v245, s[14:15] offset:784
	global_load_dwordx4 v[8:11], v245, s[14:15] offset:1568
	;; [unrolled: 1-line block ×4, first 2 shown]
	ds_read_b128 v[20:23], v245
	ds_read_b128 v[24:27], v245 offset:784
	ds_read_b128 v[28:31], v245 offset:1568
	;; [unrolled: 1-line block ×5, first 2 shown]
	global_load_dwordx4 v[44:47], v245, s[14:15] offset:3920
	ds_read_b128 v[48:51], v245 offset:9408
	v_mov_b32_e32 v52, s15
	v_mad_u64_u32 v[78:79], s[2:3], s4, v246, 0
	v_add_co_u32_e32 v56, vcc, s14, v245
	v_mad_u64_u32 v[76:77], s[0:1], s6, v112, 0
	s_mul_hi_u32 s6, s4, 0x310
	s_mul_i32 s2, s4, 0x310
	s_movk_i32 s4, 0x1000
	v_addc_co_u32_e32 v57, vcc, 0, v52, vcc
	v_add_co_u32_e32 v80, vcc, s4, v56
	v_addc_co_u32_e32 v81, vcc, 0, v57, vcc
	global_load_dwordx4 v[52:55], v[80:81], off offset:608
	s_movk_i32 s8, 0x2000
	v_add_co_u32_e32 v82, vcc, s8, v56
	v_addc_co_u32_e32 v83, vcc, 0, v57, vcc
	global_load_dwordx4 v[56:59], v[80:81], off offset:1392
	global_load_dwordx4 v[60:63], v[80:81], off offset:2176
	;; [unrolled: 1-line block ×3, first 2 shown]
	s_mul_i32 s3, s5, 0x310
	v_mov_b32_e32 v68, v77
	v_mov_b32_e32 v69, v79
	s_add_i32 s3, s6, s3
	v_mad_u64_u32 v[84:85], s[6:7], s7, v112, v[68:69]
	v_mad_u64_u32 v[85:86], s[4:5], s5, v246, v[69:70]
	global_load_dwordx4 v[68:71], v[80:81], off offset:3744
	global_load_dwordx4 v[72:75], v[82:83], off offset:432
	v_mov_b32_e32 v77, v84
	v_lshlrev_b64 v[76:77], 4, v[76:77]
	v_mov_b32_e32 v87, s13
	v_mov_b32_e32 v79, v85
	v_add_co_u32_e32 v76, vcc, s12, v76
	v_addc_co_u32_e32 v77, vcc, v87, v77, vcc
	v_lshlrev_b64 v[78:79], 4, v[78:79]
	v_mov_b32_e32 v88, s3
	v_add_co_u32_e32 v76, vcc, v76, v78
	v_addc_co_u32_e32 v77, vcc, v77, v79, vcc
	v_add_co_u32_e32 v78, vcc, s2, v76
	v_addc_co_u32_e32 v79, vcc, v77, v88, vcc
	s_mov_b32 s0, 0xf5262dd1
	s_mov_b32 s1, 0x3f59b876
	v_mov_b32_e32 v92, s3
	v_mov_b32_e32 v93, s3
	s_waitcnt vmcnt(11) lgkmcnt(6)
	v_mul_f64 v[80:81], v[22:23], v[2:3]
	v_mul_f64 v[2:3], v[20:21], v[2:3]
	s_waitcnt vmcnt(10) lgkmcnt(5)
	v_mul_f64 v[84:85], v[26:27], v[6:7]
	v_mul_f64 v[6:7], v[24:25], v[6:7]
	;; [unrolled: 3-line block ×4, first 2 shown]
	v_fma_f64 v[20:21], v[20:21], v[0:1], v[80:81]
	v_fma_f64 v[2:3], v[0:1], v[22:23], -v[2:3]
	v_fma_f64 v[22:23], v[24:25], v[4:5], v[84:85]
	v_fma_f64 v[6:7], v[4:5], v[26:27], -v[6:7]
	;; [unrolled: 2-line block ×3, first 2 shown]
	s_waitcnt vmcnt(7) lgkmcnt(2)
	v_mul_f64 v[90:91], v[38:39], v[18:19]
	v_mul_f64 v[18:19], v[36:37], v[18:19]
	v_fma_f64 v[26:27], v[32:33], v[12:13], v[88:89]
	v_fma_f64 v[14:15], v[12:13], v[34:35], -v[14:15]
	v_mul_f64 v[0:1], v[20:21], s[0:1]
	v_mul_f64 v[2:3], v[2:3], s[0:1]
	;; [unrolled: 1-line block ×6, first 2 shown]
	v_add_co_u32_e32 v20, vcc, s2, v78
	v_addc_co_u32_e32 v21, vcc, v79, v92, vcc
	v_fma_f64 v[22:23], v[36:37], v[16:17], v[90:91]
	v_fma_f64 v[16:17], v[16:17], v[38:39], -v[18:19]
	v_mul_f64 v[12:13], v[26:27], s[0:1]
	v_mul_f64 v[14:15], v[14:15], s[0:1]
	global_store_dwordx4 v[76:77], v[0:3], off
	global_store_dwordx4 v[78:79], v[4:7], off
	;; [unrolled: 1-line block ×3, first 2 shown]
	ds_read_b128 v[4:7], v245 offset:4704
	s_waitcnt vmcnt(9) lgkmcnt(2)
	v_mul_f64 v[8:9], v[42:43], v[46:47]
	v_mul_f64 v[10:11], v[40:41], v[46:47]
	v_add_co_u32_e32 v18, vcc, s2, v20
	v_addc_co_u32_e32 v19, vcc, v21, v93, vcc
	global_store_dwordx4 v[18:19], v[12:15], off
	v_mul_f64 v[0:1], v[22:23], s[0:1]
	v_mul_f64 v[2:3], v[16:17], s[0:1]
	v_fma_f64 v[12:13], v[40:41], v[44:45], v[8:9]
	v_fma_f64 v[14:15], v[44:45], v[42:43], -v[10:11]
	ds_read_b128 v[8:11], v245 offset:5488
	s_waitcnt vmcnt(9) lgkmcnt(1)
	v_mul_f64 v[16:17], v[6:7], v[54:55]
	v_mul_f64 v[20:21], v[4:5], v[54:55]
	v_mov_b32_e32 v22, s3
	v_add_co_u32_e32 v18, vcc, s2, v18
	v_addc_co_u32_e32 v19, vcc, v19, v22, vcc
	global_store_dwordx4 v[18:19], v[0:3], off
	v_fma_f64 v[4:5], v[4:5], v[52:53], v[16:17]
	v_mul_f64 v[0:1], v[12:13], s[0:1]
	v_mul_f64 v[2:3], v[14:15], s[0:1]
	v_fma_f64 v[6:7], v[52:53], v[6:7], -v[20:21]
	s_waitcnt vmcnt(9) lgkmcnt(0)
	v_mul_f64 v[12:13], v[10:11], v[58:59]
	v_mul_f64 v[14:15], v[8:9], v[58:59]
	v_add_co_u32_e32 v16, vcc, s2, v18
	v_addc_co_u32_e32 v17, vcc, v19, v22, vcc
	global_store_dwordx4 v[16:17], v[0:3], off
	v_add_co_u32_e32 v16, vcc, s2, v16
	v_mul_f64 v[0:1], v[4:5], s[0:1]
	v_mul_f64 v[2:3], v[6:7], s[0:1]
	ds_read_b128 v[4:7], v245 offset:6272
	v_fma_f64 v[12:13], v[8:9], v[56:57], v[12:13]
	v_fma_f64 v[14:15], v[56:57], v[10:11], -v[14:15]
	ds_read_b128 v[8:11], v245 offset:7056
	v_addc_co_u32_e32 v17, vcc, v17, v22, vcc
	s_waitcnt vmcnt(9) lgkmcnt(1)
	v_mul_f64 v[18:19], v[6:7], v[62:63]
	v_mul_f64 v[20:21], v[4:5], v[62:63]
	global_store_dwordx4 v[16:17], v[0:3], off
	v_add_co_u32_e32 v16, vcc, s2, v16
	v_mul_f64 v[0:1], v[12:13], s[0:1]
	v_mul_f64 v[2:3], v[14:15], s[0:1]
	s_waitcnt vmcnt(9) lgkmcnt(0)
	v_mul_f64 v[12:13], v[10:11], v[66:67]
	v_fma_f64 v[4:5], v[4:5], v[60:61], v[18:19]
	v_fma_f64 v[6:7], v[60:61], v[6:7], -v[20:21]
	v_mul_f64 v[14:15], v[8:9], v[66:67]
	v_addc_co_u32_e32 v17, vcc, v17, v22, vcc
	v_mov_b32_e32 v18, s3
	global_store_dwordx4 v[16:17], v[0:3], off
	v_fma_f64 v[12:13], v[8:9], v[64:65], v[12:13]
	v_mul_f64 v[0:1], v[4:5], s[0:1]
	v_mul_f64 v[2:3], v[6:7], s[0:1]
	v_fma_f64 v[14:15], v[64:65], v[10:11], -v[14:15]
	ds_read_b128 v[4:7], v245 offset:7840
	ds_read_b128 v[8:11], v245 offset:8624
	v_add_co_u32_e32 v16, vcc, s2, v16
	v_addc_co_u32_e32 v17, vcc, v17, v18, vcc
	s_waitcnt vmcnt(9) lgkmcnt(1)
	v_mul_f64 v[18:19], v[6:7], v[70:71]
	v_mul_f64 v[20:21], v[4:5], v[70:71]
	s_waitcnt vmcnt(8) lgkmcnt(0)
	v_mul_f64 v[22:23], v[10:11], v[74:75]
	v_mul_f64 v[24:25], v[8:9], v[74:75]
	global_store_dwordx4 v[16:17], v[0:3], off
	v_fma_f64 v[4:5], v[4:5], v[68:69], v[18:19]
	v_mul_f64 v[0:1], v[12:13], s[0:1]
	v_mul_f64 v[2:3], v[14:15], s[0:1]
	v_fma_f64 v[6:7], v[68:69], v[6:7], -v[20:21]
	v_fma_f64 v[8:9], v[8:9], v[72:73], v[22:23]
	v_fma_f64 v[10:11], v[72:73], v[10:11], -v[24:25]
	v_mov_b32_e32 v13, s3
	v_add_co_u32_e32 v12, vcc, s2, v16
	v_addc_co_u32_e32 v13, vcc, v17, v13, vcc
	global_store_dwordx4 v[12:13], v[0:3], off
	v_mov_b32_e32 v14, s3
	v_mul_f64 v[0:1], v[4:5], s[0:1]
	v_mul_f64 v[2:3], v[6:7], s[0:1]
	;; [unrolled: 1-line block ×4, first 2 shown]
	v_add_co_u32_e32 v8, vcc, s2, v12
	v_addc_co_u32_e32 v9, vcc, v13, v14, vcc
	global_store_dwordx4 v[8:9], v[0:3], off
	s_nop 0
	v_mov_b32_e32 v0, s3
	v_add_co_u32_e32 v8, vcc, s2, v8
	v_addc_co_u32_e32 v9, vcc, v9, v0, vcc
	global_store_dwordx4 v[8:9], v[4:7], off
	global_load_dwordx4 v[0:3], v[82:83], off offset:1216
	s_waitcnt vmcnt(0)
	v_mul_f64 v[4:5], v[50:51], v[2:3]
	v_mul_f64 v[2:3], v[48:49], v[2:3]
	v_fma_f64 v[4:5], v[48:49], v[0:1], v[4:5]
	v_fma_f64 v[2:3], v[0:1], v[50:51], -v[2:3]
	v_mul_f64 v[0:1], v[4:5], s[0:1]
	v_mul_f64 v[2:3], v[2:3], s[0:1]
	v_mov_b32_e32 v5, s3
	v_add_co_u32_e32 v4, vcc, s2, v8
	v_addc_co_u32_e32 v5, vcc, v9, v5, vcc
	global_store_dwordx4 v[4:5], v[0:3], off
.LBB0_15:
	s_endpgm
	.section	.rodata,"a",@progbits
	.p2align	6, 0x0
	.amdhsa_kernel bluestein_single_fwd_len637_dim1_dp_op_CI_CI
		.amdhsa_group_segment_fixed_size 10192
		.amdhsa_private_segment_fixed_size 12
		.amdhsa_kernarg_size 104
		.amdhsa_user_sgpr_count 6
		.amdhsa_user_sgpr_private_segment_buffer 1
		.amdhsa_user_sgpr_dispatch_ptr 0
		.amdhsa_user_sgpr_queue_ptr 0
		.amdhsa_user_sgpr_kernarg_segment_ptr 1
		.amdhsa_user_sgpr_dispatch_id 0
		.amdhsa_user_sgpr_flat_scratch_init 0
		.amdhsa_user_sgpr_private_segment_size 0
		.amdhsa_uses_dynamic_stack 0
		.amdhsa_system_sgpr_private_segment_wavefront_offset 1
		.amdhsa_system_sgpr_workgroup_id_x 1
		.amdhsa_system_sgpr_workgroup_id_y 0
		.amdhsa_system_sgpr_workgroup_id_z 0
		.amdhsa_system_sgpr_workgroup_info 0
		.amdhsa_system_vgpr_workitem_id 0
		.amdhsa_next_free_vgpr 256
		.amdhsa_next_free_sgpr 52
		.amdhsa_reserve_vcc 1
		.amdhsa_reserve_flat_scratch 0
		.amdhsa_float_round_mode_32 0
		.amdhsa_float_round_mode_16_64 0
		.amdhsa_float_denorm_mode_32 3
		.amdhsa_float_denorm_mode_16_64 3
		.amdhsa_dx10_clamp 1
		.amdhsa_ieee_mode 1
		.amdhsa_fp16_overflow 0
		.amdhsa_exception_fp_ieee_invalid_op 0
		.amdhsa_exception_fp_denorm_src 0
		.amdhsa_exception_fp_ieee_div_zero 0
		.amdhsa_exception_fp_ieee_overflow 0
		.amdhsa_exception_fp_ieee_underflow 0
		.amdhsa_exception_fp_ieee_inexact 0
		.amdhsa_exception_int_div_zero 0
	.end_amdhsa_kernel
	.text
.Lfunc_end0:
	.size	bluestein_single_fwd_len637_dim1_dp_op_CI_CI, .Lfunc_end0-bluestein_single_fwd_len637_dim1_dp_op_CI_CI
                                        ; -- End function
	.section	.AMDGPU.csdata,"",@progbits
; Kernel info:
; codeLenInByte = 15976
; NumSgprs: 56
; NumVgprs: 256
; ScratchSize: 12
; MemoryBound: 0
; FloatMode: 240
; IeeeMode: 1
; LDSByteSize: 10192 bytes/workgroup (compile time only)
; SGPRBlocks: 6
; VGPRBlocks: 63
; NumSGPRsForWavesPerEU: 56
; NumVGPRsForWavesPerEU: 256
; Occupancy: 1
; WaveLimiterHint : 1
; COMPUTE_PGM_RSRC2:SCRATCH_EN: 1
; COMPUTE_PGM_RSRC2:USER_SGPR: 6
; COMPUTE_PGM_RSRC2:TRAP_HANDLER: 0
; COMPUTE_PGM_RSRC2:TGID_X_EN: 1
; COMPUTE_PGM_RSRC2:TGID_Y_EN: 0
; COMPUTE_PGM_RSRC2:TGID_Z_EN: 0
; COMPUTE_PGM_RSRC2:TIDIG_COMP_CNT: 0
	.type	__hip_cuid_e9d3dbfbeaa25833,@object ; @__hip_cuid_e9d3dbfbeaa25833
	.section	.bss,"aw",@nobits
	.globl	__hip_cuid_e9d3dbfbeaa25833
__hip_cuid_e9d3dbfbeaa25833:
	.byte	0                               ; 0x0
	.size	__hip_cuid_e9d3dbfbeaa25833, 1

	.ident	"AMD clang version 19.0.0git (https://github.com/RadeonOpenCompute/llvm-project roc-6.4.0 25133 c7fe45cf4b819c5991fe208aaa96edf142730f1d)"
	.section	".note.GNU-stack","",@progbits
	.addrsig
	.addrsig_sym __hip_cuid_e9d3dbfbeaa25833
	.amdgpu_metadata
---
amdhsa.kernels:
  - .args:
      - .actual_access:  read_only
        .address_space:  global
        .offset:         0
        .size:           8
        .value_kind:     global_buffer
      - .actual_access:  read_only
        .address_space:  global
        .offset:         8
        .size:           8
        .value_kind:     global_buffer
      - .actual_access:  read_only
        .address_space:  global
        .offset:         16
        .size:           8
        .value_kind:     global_buffer
      - .actual_access:  read_only
        .address_space:  global
        .offset:         24
        .size:           8
        .value_kind:     global_buffer
      - .actual_access:  read_only
        .address_space:  global
        .offset:         32
        .size:           8
        .value_kind:     global_buffer
      - .offset:         40
        .size:           8
        .value_kind:     by_value
      - .address_space:  global
        .offset:         48
        .size:           8
        .value_kind:     global_buffer
      - .address_space:  global
        .offset:         56
        .size:           8
        .value_kind:     global_buffer
      - .address_space:  global
        .offset:         64
        .size:           8
        .value_kind:     global_buffer
      - .address_space:  global
        .offset:         72
        .size:           8
        .value_kind:     global_buffer
      - .offset:         80
        .size:           4
        .value_kind:     by_value
      - .address_space:  global
        .offset:         88
        .size:           8
        .value_kind:     global_buffer
      - .address_space:  global
        .offset:         96
        .size:           8
        .value_kind:     global_buffer
    .group_segment_fixed_size: 10192
    .kernarg_segment_align: 8
    .kernarg_segment_size: 104
    .language:       OpenCL C
    .language_version:
      - 2
      - 0
    .max_flat_workgroup_size: 91
    .name:           bluestein_single_fwd_len637_dim1_dp_op_CI_CI
    .private_segment_fixed_size: 12
    .sgpr_count:     56
    .sgpr_spill_count: 0
    .symbol:         bluestein_single_fwd_len637_dim1_dp_op_CI_CI.kd
    .uniform_work_group_size: 1
    .uses_dynamic_stack: false
    .vgpr_count:     256
    .vgpr_spill_count: 2
    .wavefront_size: 64
amdhsa.target:   amdgcn-amd-amdhsa--gfx906
amdhsa.version:
  - 1
  - 2
...

	.end_amdgpu_metadata
